;; amdgpu-corpus repo=ROCm/rocFFT kind=compiled arch=gfx1030 opt=O3
	.text
	.amdgcn_target "amdgcn-amd-amdhsa--gfx1030"
	.amdhsa_code_object_version 6
	.protected	fft_rtc_back_len182_factors_13_2_7_wgs_52_tpt_13_sp_ip_CI_sbrr_dirReg ; -- Begin function fft_rtc_back_len182_factors_13_2_7_wgs_52_tpt_13_sp_ip_CI_sbrr_dirReg
	.globl	fft_rtc_back_len182_factors_13_2_7_wgs_52_tpt_13_sp_ip_CI_sbrr_dirReg
	.p2align	8
	.type	fft_rtc_back_len182_factors_13_2_7_wgs_52_tpt_13_sp_ip_CI_sbrr_dirReg,@function
fft_rtc_back_len182_factors_13_2_7_wgs_52_tpt_13_sp_ip_CI_sbrr_dirReg: ; @fft_rtc_back_len182_factors_13_2_7_wgs_52_tpt_13_sp_ip_CI_sbrr_dirReg
; %bb.0:
	s_clause 0x2
	s_load_dwordx2 s[14:15], s[4:5], 0x18
	s_load_dwordx4 s[8:11], s[4:5], 0x0
	s_load_dwordx2 s[12:13], s[4:5], 0x50
	v_mul_u32_u24_e32 v1, 0x13b2, v0
	v_mov_b32_e32 v3, 0
	v_lshrrev_b32_e32 v57, 16, v1
	v_mov_b32_e32 v1, 0
	v_mov_b32_e32 v6, v3
	v_mov_b32_e32 v2, 0
	v_lshl_add_u32 v5, s6, 2, v57
	s_waitcnt lgkmcnt(0)
	s_load_dwordx2 s[2:3], s[14:15], 0x0
	v_cmp_lt_u64_e64 s0, s[10:11], 2
	s_and_b32 vcc_lo, exec_lo, s0
	s_cbranch_vccnz .LBB0_8
; %bb.1:
	s_load_dwordx2 s[0:1], s[4:5], 0x10
	v_mov_b32_e32 v1, 0
	s_add_u32 s6, s14, 8
	v_mov_b32_e32 v2, 0
	s_addc_u32 s7, s15, 0
	s_mov_b64 s[18:19], 1
	s_waitcnt lgkmcnt(0)
	s_add_u32 s16, s0, 8
	s_addc_u32 s17, s1, 0
.LBB0_2:                                ; =>This Inner Loop Header: Depth=1
	s_load_dwordx2 s[20:21], s[16:17], 0x0
                                        ; implicit-def: $vgpr7_vgpr8
	s_mov_b32 s0, exec_lo
	s_waitcnt lgkmcnt(0)
	v_or_b32_e32 v4, s21, v6
	v_cmpx_ne_u64_e32 0, v[3:4]
	s_xor_b32 s1, exec_lo, s0
	s_cbranch_execz .LBB0_4
; %bb.3:                                ;   in Loop: Header=BB0_2 Depth=1
	v_cvt_f32_u32_e32 v4, s20
	v_cvt_f32_u32_e32 v7, s21
	s_sub_u32 s0, 0, s20
	s_subb_u32 s22, 0, s21
	v_fmac_f32_e32 v4, 0x4f800000, v7
	v_rcp_f32_e32 v4, v4
	v_mul_f32_e32 v4, 0x5f7ffffc, v4
	v_mul_f32_e32 v7, 0x2f800000, v4
	v_trunc_f32_e32 v7, v7
	v_fmac_f32_e32 v4, 0xcf800000, v7
	v_cvt_u32_f32_e32 v7, v7
	v_cvt_u32_f32_e32 v4, v4
	v_mul_lo_u32 v8, s0, v7
	v_mul_hi_u32 v9, s0, v4
	v_mul_lo_u32 v10, s22, v4
	v_add_nc_u32_e32 v8, v9, v8
	v_mul_lo_u32 v9, s0, v4
	v_add_nc_u32_e32 v8, v8, v10
	v_mul_hi_u32 v10, v4, v9
	v_mul_lo_u32 v11, v4, v8
	v_mul_hi_u32 v12, v4, v8
	v_mul_hi_u32 v13, v7, v9
	v_mul_lo_u32 v9, v7, v9
	v_mul_hi_u32 v14, v7, v8
	v_mul_lo_u32 v8, v7, v8
	v_add_co_u32 v10, vcc_lo, v10, v11
	v_add_co_ci_u32_e32 v11, vcc_lo, 0, v12, vcc_lo
	v_add_co_u32 v9, vcc_lo, v10, v9
	v_add_co_ci_u32_e32 v9, vcc_lo, v11, v13, vcc_lo
	v_add_co_ci_u32_e32 v10, vcc_lo, 0, v14, vcc_lo
	v_add_co_u32 v8, vcc_lo, v9, v8
	v_add_co_ci_u32_e32 v9, vcc_lo, 0, v10, vcc_lo
	v_add_co_u32 v4, vcc_lo, v4, v8
	v_add_co_ci_u32_e32 v7, vcc_lo, v7, v9, vcc_lo
	v_mul_hi_u32 v8, s0, v4
	v_mul_lo_u32 v10, s22, v4
	v_mul_lo_u32 v9, s0, v7
	v_add_nc_u32_e32 v8, v8, v9
	v_mul_lo_u32 v9, s0, v4
	v_add_nc_u32_e32 v8, v8, v10
	v_mul_hi_u32 v10, v4, v9
	v_mul_lo_u32 v11, v4, v8
	v_mul_hi_u32 v12, v4, v8
	v_mul_hi_u32 v13, v7, v9
	v_mul_lo_u32 v9, v7, v9
	v_mul_hi_u32 v14, v7, v8
	v_mul_lo_u32 v8, v7, v8
	v_add_co_u32 v10, vcc_lo, v10, v11
	v_add_co_ci_u32_e32 v11, vcc_lo, 0, v12, vcc_lo
	v_add_co_u32 v9, vcc_lo, v10, v9
	v_add_co_ci_u32_e32 v9, vcc_lo, v11, v13, vcc_lo
	v_add_co_ci_u32_e32 v10, vcc_lo, 0, v14, vcc_lo
	v_add_co_u32 v8, vcc_lo, v9, v8
	v_add_co_ci_u32_e32 v9, vcc_lo, 0, v10, vcc_lo
	v_add_co_u32 v4, vcc_lo, v4, v8
	v_add_co_ci_u32_e32 v11, vcc_lo, v7, v9, vcc_lo
	v_mul_hi_u32 v13, v5, v4
	v_mad_u64_u32 v[9:10], null, v6, v4, 0
	v_mad_u64_u32 v[7:8], null, v5, v11, 0
	;; [unrolled: 1-line block ×3, first 2 shown]
	v_add_co_u32 v4, vcc_lo, v13, v7
	v_add_co_ci_u32_e32 v7, vcc_lo, 0, v8, vcc_lo
	v_add_co_u32 v4, vcc_lo, v4, v9
	v_add_co_ci_u32_e32 v4, vcc_lo, v7, v10, vcc_lo
	v_add_co_ci_u32_e32 v7, vcc_lo, 0, v12, vcc_lo
	v_add_co_u32 v4, vcc_lo, v4, v11
	v_add_co_ci_u32_e32 v9, vcc_lo, 0, v7, vcc_lo
	v_mul_lo_u32 v10, s21, v4
	v_mad_u64_u32 v[7:8], null, s20, v4, 0
	v_mul_lo_u32 v11, s20, v9
	v_sub_co_u32 v7, vcc_lo, v5, v7
	v_add3_u32 v8, v8, v11, v10
	v_sub_nc_u32_e32 v10, v6, v8
	v_subrev_co_ci_u32_e64 v10, s0, s21, v10, vcc_lo
	v_add_co_u32 v11, s0, v4, 2
	v_add_co_ci_u32_e64 v12, s0, 0, v9, s0
	v_sub_co_u32 v13, s0, v7, s20
	v_sub_co_ci_u32_e32 v8, vcc_lo, v6, v8, vcc_lo
	v_subrev_co_ci_u32_e64 v10, s0, 0, v10, s0
	v_cmp_le_u32_e32 vcc_lo, s20, v13
	v_cmp_eq_u32_e64 s0, s21, v8
	v_cndmask_b32_e64 v13, 0, -1, vcc_lo
	v_cmp_le_u32_e32 vcc_lo, s21, v10
	v_cndmask_b32_e64 v14, 0, -1, vcc_lo
	v_cmp_le_u32_e32 vcc_lo, s20, v7
	;; [unrolled: 2-line block ×3, first 2 shown]
	v_cndmask_b32_e64 v15, 0, -1, vcc_lo
	v_cmp_eq_u32_e32 vcc_lo, s21, v10
	v_cndmask_b32_e64 v7, v15, v7, s0
	v_cndmask_b32_e32 v10, v14, v13, vcc_lo
	v_add_co_u32 v13, vcc_lo, v4, 1
	v_add_co_ci_u32_e32 v14, vcc_lo, 0, v9, vcc_lo
	v_cmp_ne_u32_e32 vcc_lo, 0, v10
	v_cndmask_b32_e32 v8, v14, v12, vcc_lo
	v_cndmask_b32_e32 v10, v13, v11, vcc_lo
	v_cmp_ne_u32_e32 vcc_lo, 0, v7
	v_cndmask_b32_e32 v8, v9, v8, vcc_lo
	v_cndmask_b32_e32 v7, v4, v10, vcc_lo
.LBB0_4:                                ;   in Loop: Header=BB0_2 Depth=1
	s_andn2_saveexec_b32 s0, s1
	s_cbranch_execz .LBB0_6
; %bb.5:                                ;   in Loop: Header=BB0_2 Depth=1
	v_cvt_f32_u32_e32 v4, s20
	s_sub_i32 s1, 0, s20
	v_rcp_iflag_f32_e32 v4, v4
	v_mul_f32_e32 v4, 0x4f7ffffe, v4
	v_cvt_u32_f32_e32 v4, v4
	v_mul_lo_u32 v7, s1, v4
	v_mul_hi_u32 v7, v4, v7
	v_add_nc_u32_e32 v4, v4, v7
	v_mul_hi_u32 v4, v5, v4
	v_mul_lo_u32 v7, v4, s20
	v_add_nc_u32_e32 v8, 1, v4
	v_sub_nc_u32_e32 v7, v5, v7
	v_subrev_nc_u32_e32 v9, s20, v7
	v_cmp_le_u32_e32 vcc_lo, s20, v7
	v_cndmask_b32_e32 v7, v7, v9, vcc_lo
	v_cndmask_b32_e32 v4, v4, v8, vcc_lo
	v_cmp_le_u32_e32 vcc_lo, s20, v7
	v_add_nc_u32_e32 v8, 1, v4
	v_cndmask_b32_e32 v7, v4, v8, vcc_lo
	v_mov_b32_e32 v8, v3
.LBB0_6:                                ;   in Loop: Header=BB0_2 Depth=1
	s_or_b32 exec_lo, exec_lo, s0
	s_load_dwordx2 s[0:1], s[6:7], 0x0
	v_mul_lo_u32 v4, v8, s20
	v_mul_lo_u32 v11, v7, s21
	v_mad_u64_u32 v[9:10], null, v7, s20, 0
	s_add_u32 s18, s18, 1
	s_addc_u32 s19, s19, 0
	s_add_u32 s6, s6, 8
	s_addc_u32 s7, s7, 0
	s_add_u32 s16, s16, 8
	s_addc_u32 s17, s17, 0
	v_add3_u32 v4, v10, v11, v4
	v_sub_co_u32 v5, vcc_lo, v5, v9
	v_sub_co_ci_u32_e32 v4, vcc_lo, v6, v4, vcc_lo
	s_waitcnt lgkmcnt(0)
	v_mul_lo_u32 v6, s1, v5
	v_mul_lo_u32 v4, s0, v4
	v_mad_u64_u32 v[1:2], null, s0, v5, v[1:2]
	v_cmp_ge_u64_e64 s0, s[18:19], s[10:11]
	s_and_b32 vcc_lo, exec_lo, s0
	v_add3_u32 v2, v6, v2, v4
	s_cbranch_vccnz .LBB0_9
; %bb.7:                                ;   in Loop: Header=BB0_2 Depth=1
	v_mov_b32_e32 v5, v7
	v_mov_b32_e32 v6, v8
	s_branch .LBB0_2
.LBB0_8:
	v_mov_b32_e32 v8, v6
	v_mov_b32_e32 v7, v5
.LBB0_9:
	s_lshl_b64 s[0:1], s[10:11], 3
	v_mul_hi_u32 v3, 0x13b13b14, v0
	s_add_u32 s0, s14, s0
	s_addc_u32 s1, s15, s1
                                        ; implicit-def: $vgpr44
                                        ; implicit-def: $vgpr50
                                        ; implicit-def: $vgpr46
                                        ; implicit-def: $vgpr40
                                        ; implicit-def: $vgpr38
                                        ; implicit-def: $vgpr34
                                        ; implicit-def: $vgpr30
                                        ; implicit-def: $vgpr32
                                        ; implicit-def: $vgpr36
                                        ; implicit-def: $vgpr42
                                        ; implicit-def: $vgpr52
                                        ; implicit-def: $vgpr26
                                        ; implicit-def: $vgpr24
                                        ; implicit-def: $vgpr18
                                        ; implicit-def: $vgpr12
                                        ; implicit-def: $vgpr28
                                        ; implicit-def: $vgpr20
                                        ; implicit-def: $vgpr10
                                        ; implicit-def: $vgpr14
                                        ; implicit-def: $vgpr16
                                        ; implicit-def: $vgpr22
                                        ; implicit-def: $vgpr54
                                        ; implicit-def: $vgpr48
	s_load_dwordx2 s[0:1], s[0:1], 0x0
	s_load_dwordx2 s[4:5], s[4:5], 0x20
	s_waitcnt lgkmcnt(0)
	v_mul_lo_u32 v4, s0, v8
	v_mul_lo_u32 v9, s1, v7
	v_mad_u64_u32 v[5:6], null, s0, v7, v[1:2]
	v_mul_u32_u24_e32 v1, 13, v3
	v_cmp_gt_u64_e32 vcc_lo, s[4:5], v[7:8]
	v_mov_b32_e32 v3, 0
                                        ; implicit-def: $vgpr8
	v_sub_nc_u32_e32 v2, v0, v1
	v_add3_u32 v6, v9, v6, v4
	v_mov_b32_e32 v4, 0
	v_lshlrev_b64 v[0:1], 3, v[5:6]
                                        ; implicit-def: $vgpr6
	s_and_saveexec_b32 s1, vcc_lo
	s_cbranch_execz .LBB0_13
; %bb.10:
	v_add_nc_u32_e32 v13, 14, v2
	v_add_nc_u32_e32 v14, 28, v2
	v_mad_u64_u32 v[3:4], null, s2, v2, 0
	v_add_nc_u32_e32 v15, 42, v2
	v_mad_u64_u32 v[5:6], null, s2, v13, 0
	v_mad_u64_u32 v[7:8], null, s2, v14, 0
	;; [unrolled: 1-line block ×3, first 2 shown]
	v_add_nc_u32_e32 v16, 56, v2
	v_add_nc_u32_e32 v19, 0x46, v2
	v_mad_u64_u32 v[11:12], null, s3, v2, v[4:5]
	v_mad_u64_u32 v[12:13], null, s3, v13, v[6:7]
	v_add_co_u32 v55, s0, s12, v0
	v_add_co_ci_u32_e64 v56, s0, s13, v1, s0
	v_mov_b32_e32 v4, v11
	v_add_nc_u32_e32 v20, 0x54, v2
	v_mov_b32_e32 v6, v12
	v_mad_u64_u32 v[11:12], null, s3, v14, v[8:9]
	v_lshlrev_b64 v[3:4], 3, v[3:4]
	v_mad_u64_u32 v[17:18], null, s2, v20, 0
	v_lshlrev_b64 v[5:6], 3, v[5:6]
	v_add_nc_u32_e32 v22, 0x8c, v2
	v_add_nc_u32_e32 v25, 0x9a, v2
	v_mad_u64_u32 v[12:13], null, s3, v15, v[10:11]
	v_mad_u64_u32 v[13:14], null, s2, v16, 0
	v_mov_b32_e32 v8, v11
	v_add_co_u32 v3, s0, v55, v3
	v_add_co_ci_u32_e64 v4, s0, v56, v4, s0
	v_mov_b32_e32 v10, v12
	v_mov_b32_e32 v11, v14
	v_lshlrev_b64 v[7:8], 3, v[7:8]
	v_add_co_u32 v5, s0, v55, v5
	v_lshlrev_b64 v[9:10], 3, v[9:10]
	v_mad_u64_u32 v[11:12], null, s3, v16, v[11:12]
	v_mad_u64_u32 v[15:16], null, s2, v19, 0
	v_add_co_ci_u32_e64 v6, s0, v56, v6, s0
	v_add_co_u32 v7, s0, v55, v7
	v_mov_b32_e32 v14, v11
	v_add_co_ci_u32_e64 v8, s0, v56, v8, s0
	v_mov_b32_e32 v12, v16
	v_add_co_u32 v9, s0, v55, v9
	v_add_co_ci_u32_e64 v10, s0, v56, v10, s0
	v_mad_u64_u32 v[11:12], null, s3, v19, v[12:13]
	v_add_nc_u32_e32 v12, 0x62, v2
	s_clause 0x3
	global_load_dwordx2 v[43:44], v[3:4], off
	global_load_dwordx2 v[49:50], v[5:6], off
	;; [unrolled: 1-line block ×4, first 2 shown]
	v_mov_b32_e32 v5, v18
	v_lshlrev_b64 v[3:4], 3, v[13:14]
	v_or_b32_e32 v19, 0x70, v2
	v_mad_u64_u32 v[6:7], null, s2, v12, 0
	v_mov_b32_e32 v16, v11
	s_mov_b32 s4, exec_lo
	v_add_co_u32 v3, s0, v55, v3
	v_add_co_ci_u32_e64 v4, s0, v56, v4, s0
	v_mad_u64_u32 v[8:9], null, s3, v20, v[5:6]
	v_mov_b32_e32 v5, v7
	v_lshlrev_b64 v[9:10], 3, v[15:16]
	v_mad_u64_u32 v[20:21], null, s2, v25, 0
                                        ; implicit-def: $vgpr27
	v_mov_b32_e32 v18, v8
	v_mad_u64_u32 v[7:8], null, s3, v12, v[5:6]
	v_mad_u64_u32 v[11:12], null, s2, v19, 0
	v_add_co_u32 v8, s0, v55, v9
	v_add_co_ci_u32_e64 v9, s0, v56, v10, s0
	v_add_nc_u32_e32 v10, 0x7e, v2
	v_lshlrev_b64 v[6:7], 3, v[6:7]
	v_lshlrev_b64 v[13:14], 3, v[17:18]
	v_mov_b32_e32 v5, v12
	v_mad_u64_u32 v[15:16], null, s2, v10, 0
	v_mad_u64_u32 v[17:18], null, s3, v19, v[5:6]
	v_add_co_u32 v13, s0, v55, v13
	v_mad_u64_u32 v[18:19], null, s2, v22, 0
	v_add_co_ci_u32_e64 v14, s0, v56, v14, s0
	v_mov_b32_e32 v5, v16
	v_add_co_u32 v6, s0, v55, v6
	v_mov_b32_e32 v12, v17
	v_add_co_ci_u32_e64 v7, s0, v56, v7, s0
	v_mad_u64_u32 v[16:17], null, s3, v10, v[5:6]
	v_mov_b32_e32 v5, v19
	v_add_nc_u32_e32 v10, 0xa8, v2
	s_clause 0x3
	global_load_dwordx2 v[37:38], v[3:4], off
	global_load_dwordx2 v[33:34], v[8:9], off
	;; [unrolled: 1-line block ×4, first 2 shown]
	v_mov_b32_e32 v3, v21
                                        ; implicit-def: $vgpr17
	v_mad_u64_u32 v[22:23], null, s3, v22, v[5:6]
	v_mad_u64_u32 v[23:24], null, s2, v10, 0
	v_lshlrev_b64 v[4:5], 3, v[11:12]
	v_mov_b32_e32 v19, v22
	v_mad_u64_u32 v[6:7], null, s3, v25, v[3:4]
	v_mov_b32_e32 v3, v24
	v_add_co_u32 v4, s0, v55, v4
	v_lshlrev_b64 v[7:8], 3, v[15:16]
	v_add_co_ci_u32_e64 v5, s0, v56, v5, s0
	v_mad_u64_u32 v[9:10], null, s3, v10, v[3:4]
	v_lshlrev_b64 v[10:11], 3, v[18:19]
	v_mov_b32_e32 v21, v6
	v_add_co_u32 v6, s0, v55, v7
	v_add_co_ci_u32_e64 v7, s0, v56, v8, s0
	v_mov_b32_e32 v24, v9
	v_lshlrev_b64 v[12:13], 3, v[20:21]
	v_add_co_u32 v8, s0, v55, v10
	v_add_co_ci_u32_e64 v9, s0, v56, v11, s0
	v_lshlrev_b64 v[10:11], 3, v[23:24]
	v_add_co_u32 v12, s0, v55, v12
	v_add_co_ci_u32_e64 v13, s0, v56, v13, s0
	v_mov_b32_e32 v3, 0
	v_add_co_u32 v10, s0, v55, v10
	v_add_co_ci_u32_e64 v11, s0, v56, v11, s0
	s_clause 0x4
	global_load_dwordx2 v[35:36], v[4:5], off
	global_load_dwordx2 v[41:42], v[6:7], off
	;; [unrolled: 1-line block ×5, first 2 shown]
	v_mov_b32_e32 v4, 0
                                        ; implicit-def: $vgpr21
                                        ; implicit-def: $vgpr15
                                        ; implicit-def: $vgpr13
                                        ; implicit-def: $vgpr9
                                        ; implicit-def: $vgpr7
                                        ; implicit-def: $vgpr5
                                        ; implicit-def: $vgpr19
                                        ; implicit-def: $vgpr11
                                        ; implicit-def: $vgpr23
                                        ; implicit-def: $vgpr25
	v_cmpx_eq_u32_e32 0, v2
	s_cbranch_execz .LBB0_12
; %bb.11:
	v_mad_u64_u32 v[5:6], null, 0xd8, s2, v[55:56]
	v_mad_u64_u32 v[2:3], null, 0x68, s2, v[55:56]
	;; [unrolled: 1-line block ×5, first 2 shown]
	v_mov_b32_e32 v4, v6
	v_mad_u64_u32 v[21:22], null, 0x378, s2, v[55:56]
	v_mad_u64_u32 v[58:59], null, 0x458, s2, v[55:56]
	;; [unrolled: 1-line block ×3, first 2 shown]
	v_mov_b32_e32 v3, v8
	v_mad_u64_u32 v[14:15], null, 0xd8, s3, v[4:5]
	v_mov_b32_e32 v4, v10
	v_mov_b32_e32 v6, v12
	v_mad_u64_u32 v[60:61], null, 0x4c8, s2, v[55:56]
	v_mad_u64_u32 v[62:63], null, 0x538, s2, v[55:56]
	;; [unrolled: 1-line block ×5, first 2 shown]
	v_mov_b32_e32 v3, v13
	v_mov_b32_e32 v6, v14
	;; [unrolled: 1-line block ×3, first 2 shown]
	v_mad_u64_u32 v[13:14], null, 0x298, s2, v[55:56]
	v_mov_b32_e32 v10, v16
	v_mov_b32_e32 v12, v17
	s_clause 0x4
	global_load_dwordx2 v[3:4], v[2:3], off
	global_load_dwordx2 v[25:26], v[5:6], off
	;; [unrolled: 1-line block ×5, first 2 shown]
	v_mad_u64_u32 v[15:16], null, 0x308, s2, v[55:56]
	v_mad_u64_u32 v[7:8], null, 0x3e8, s2, v[55:56]
	v_mov_b32_e32 v2, v14
	v_mov_b32_e32 v6, v22
	v_mad_u64_u32 v[55:56], null, 0x5a8, s2, v[55:56]
	v_mov_b32_e32 v5, v16
	v_mad_u64_u32 v[19:20], null, 0x308, s3, v[5:6]
	v_mad_u64_u32 v[5:6], null, 0x378, s3, v[6:7]
	v_mov_b32_e32 v6, v59
	v_mov_b32_e32 v16, v19
	v_mad_u64_u32 v[64:65], null, 0x458, s3, v[6:7]
	v_mov_b32_e32 v6, v63
	v_mov_b32_e32 v22, v5
	;; [unrolled: 1-line block ×3, first 2 shown]
	s_waitcnt vmcnt(4)
	v_mad_u64_u32 v[9:10], null, 0x298, s3, v[2:3]
	v_mov_b32_e32 v2, v8
	v_mov_b32_e32 v8, v56
	v_mad_u64_u32 v[27:28], null, 0x3e8, s3, v[2:3]
	v_mov_b32_e32 v2, v61
	v_mov_b32_e32 v14, v9
	v_mad_u64_u32 v[65:66], null, 0x4c8, s3, v[2:3]
	v_mad_u64_u32 v[66:67], null, 0x538, s3, v[6:7]
	;; [unrolled: 1-line block ×3, first 2 shown]
	v_mov_b32_e32 v8, v27
	v_mov_b32_e32 v2, 0
	v_mov_b32_e32 v61, v65
	v_mov_b32_e32 v63, v66
	v_mov_b32_e32 v56, v67
	s_clause 0x7
	global_load_dwordx2 v[27:28], v[13:14], off
	global_load_dwordx2 v[19:20], v[15:16], off
	;; [unrolled: 1-line block ×8, first 2 shown]
.LBB0_12:
	s_or_b32 exec_lo, exec_lo, s4
.LBB0_13:
	s_or_b32 exec_lo, exec_lo, s1
	s_waitcnt vmcnt(11)
	v_add_f32_e32 v55, v43, v49
	v_add_f32_e32 v56, v44, v50
	s_waitcnt vmcnt(0)
	v_add_f32_e32 v58, v53, v49
	v_sub_f32_e32 v61, v49, v53
	v_add_f32_e32 v59, v54, v50
	v_add_f32_e32 v55, v55, v45
	v_add_f32_e32 v56, v56, v46
	v_sub_f32_e32 v60, v50, v54
	v_and_b32_e32 v57, 3, v57
	v_sub_f32_e32 v79, v46, v52
	v_add_f32_e32 v49, v55, v39
	v_add_f32_e32 v50, v56, v40
	v_mul_f32_e32 v56, 0xbeedf032, v60
	v_mul_f32_e32 v64, 0xbf7e222b, v60
	v_mul_u32_u24_e32 v55, 0xb6, v57
	v_add_f32_e32 v49, v49, v37
	v_add_f32_e32 v50, v50, v38
	v_mul_f32_e32 v57, 0xbeedf032, v61
	v_mul_f32_e32 v62, 0xbf52af12, v60
	;; [unrolled: 1-line block ×3, first 2 shown]
	v_add_f32_e32 v49, v49, v33
	v_add_f32_e32 v50, v50, v34
	v_mul_f32_e32 v65, 0xbf7e222b, v61
	v_mul_f32_e32 v66, 0xbf6f5d39, v60
	v_fmamk_f32 v67, v58, 0x3f62ad3f, v56
	v_add_f32_e32 v49, v49, v29
	v_add_f32_e32 v50, v50, v30
	v_fmamk_f32 v71, v58, 0x3df6dbef, v64
	v_mul_f32_e32 v74, 0xbf29c268, v60
	v_mul_f32_e32 v75, 0xbf29c268, v61
	v_add_f32_e32 v49, v49, v31
	v_add_f32_e32 v50, v50, v32
	v_mul_f32_e32 v60, 0xbe750f2a, v60
	v_add_f32_e32 v81, v45, v51
	v_mul_f32_e32 v82, 0xbf52af12, v79
	v_add_f32_e32 v49, v49, v35
	v_add_f32_e32 v50, v50, v36
	v_sub_f32_e32 v45, v45, v51
	v_fma_f32 v68, 0x3f62ad3f, v59, -v57
	v_fma_f32 v56, 0x3f62ad3f, v58, -v56
	v_add_f32_e32 v49, v49, v41
	v_add_f32_e32 v50, v50, v42
	v_fmac_f32_e32 v57, 0x3f62ad3f, v59
	v_fmamk_f32 v69, v58, 0x3f116cb1, v62
	v_fma_f32 v70, 0x3f116cb1, v59, -v63
	v_add_f32_e32 v49, v49, v47
	v_add_f32_e32 v50, v50, v48
	v_fma_f32 v62, 0x3f116cb1, v58, -v62
	v_fmac_f32_e32 v63, 0x3f116cb1, v59
	v_fma_f32 v72, 0x3df6dbef, v59, -v65
	v_add_f32_e32 v49, v49, v51
	v_add_f32_e32 v50, v50, v52
	;; [unrolled: 1-line block ×3, first 2 shown]
	v_fmac_f32_e32 v65, 0x3df6dbef, v59
	v_fmamk_f32 v76, v58, 0xbf3f9e67, v74
	v_add_f32_e32 v49, v53, v49
	v_fma_f32 v53, 0x3df6dbef, v58, -v64
	v_mul_f32_e32 v64, 0xbf6f5d39, v61
	v_mul_f32_e32 v61, 0xbe750f2a, v61
	v_add_f32_e32 v50, v54, v50
	v_fmamk_f32 v54, v58, 0xbeb58ec6, v66
	v_fma_f32 v66, 0xbeb58ec6, v58, -v66
	v_fma_f32 v73, 0xbeb58ec6, v59, -v64
	v_fmac_f32_e32 v64, 0xbeb58ec6, v59
	v_fma_f32 v77, 0xbf3f9e67, v59, -v75
	v_fma_f32 v74, 0xbf3f9e67, v58, -v74
	v_fmac_f32_e32 v75, 0xbf3f9e67, v59
	v_fmamk_f32 v78, v58, 0xbf788fa5, v60
	v_fma_f32 v80, 0xbf788fa5, v59, -v61
	v_fma_f32 v51, 0xbf788fa5, v58, -v60
	v_fmac_f32_e32 v61, 0xbf788fa5, v59
	v_add_f32_e32 v46, v46, v52
	v_fmamk_f32 v52, v81, 0x3f116cb1, v82
	v_mul_f32_e32 v58, 0xbf52af12, v45
	v_add_f32_e32 v68, v68, v44
	v_add_f32_e32 v56, v56, v43
	;; [unrolled: 1-line block ×24, first 2 shown]
	v_fma_f32 v52, 0x3f116cb1, v46, -v58
	v_mul_f32_e32 v60, 0xbf6f5d39, v79
	v_fma_f32 v61, 0x3f116cb1, v81, -v82
	v_fmac_f32_e32 v58, 0x3f116cb1, v46
	v_mul_f32_e32 v67, 0xbf6f5d39, v45
	v_add_f32_e32 v52, v52, v68
	v_fmamk_f32 v68, v81, 0xbeb58ec6, v60
	v_add_f32_e32 v56, v61, v56
	v_add_f32_e32 v57, v58, v57
	v_fma_f32 v58, 0xbeb58ec6, v46, -v67
	v_mul_f32_e32 v61, 0xbe750f2a, v79
	v_add_f32_e32 v68, v68, v69
	v_fma_f32 v60, 0xbeb58ec6, v81, -v60
	v_fmac_f32_e32 v67, 0xbeb58ec6, v46
	v_add_f32_e32 v58, v58, v70
	v_fmamk_f32 v69, v81, 0xbf788fa5, v61
	v_mul_f32_e32 v70, 0xbe750f2a, v45
	v_add_f32_e32 v60, v60, v62
	v_add_f32_e32 v62, v67, v63
	v_mul_f32_e32 v63, 0x3f29c268, v79
	v_add_f32_e32 v67, v69, v71
	v_fma_f32 v69, 0xbf788fa5, v46, -v70
	v_fma_f32 v61, 0xbf788fa5, v81, -v61
	v_fmac_f32_e32 v70, 0xbf788fa5, v46
	v_mul_f32_e32 v80, 0x3f29c268, v45
	v_fmamk_f32 v71, v81, 0xbf3f9e67, v63
	v_add_f32_e32 v69, v69, v72
	v_add_f32_e32 v53, v61, v53
	;; [unrolled: 1-line block ×3, first 2 shown]
	v_fma_f32 v65, 0xbf3f9e67, v46, -v80
	v_mul_f32_e32 v70, 0x3f7e222b, v79
	v_add_f32_e32 v54, v71, v54
	v_fma_f32 v63, 0xbf3f9e67, v81, -v63
	v_mul_f32_e32 v71, 0x3f7e222b, v45
	v_add_f32_e32 v65, v65, v73
	v_fmamk_f32 v72, v81, 0x3df6dbef, v70
	v_mul_f32_e32 v73, 0x3eedf032, v79
	v_fma_f32 v70, 0x3df6dbef, v81, -v70
	v_add_f32_e32 v63, v63, v66
	v_fma_f32 v66, 0x3df6dbef, v46, -v71
	v_add_f32_e32 v72, v72, v76
	v_fmac_f32_e32 v71, 0x3df6dbef, v46
	v_fmamk_f32 v76, v81, 0x3f62ad3f, v73
	v_add_f32_e32 v70, v70, v74
	v_sub_f32_e32 v74, v40, v48
	v_add_f32_e32 v66, v66, v77
	v_mul_f32_e32 v45, 0x3eedf032, v45
	v_add_f32_e32 v71, v71, v75
	v_add_f32_e32 v75, v76, v78
	;; [unrolled: 1-line block ×3, first 2 shown]
	v_mul_f32_e32 v78, 0xbf7e222b, v74
	v_sub_f32_e32 v39, v39, v47
	v_fmac_f32_e32 v80, 0xbf3f9e67, v46
	v_fma_f32 v76, 0x3f62ad3f, v46, -v45
	v_fma_f32 v47, 0x3f62ad3f, v81, -v73
	v_fmac_f32_e32 v45, 0x3f62ad3f, v46
	v_add_f32_e32 v40, v48, v40
	v_fmamk_f32 v46, v77, 0x3df6dbef, v78
	v_mul_f32_e32 v48, 0xbf7e222b, v39
	v_add_f32_e32 v43, v47, v43
	v_add_f32_e32 v44, v45, v44
	v_mul_f32_e32 v47, 0xbe750f2a, v74
	v_add_f32_e32 v45, v51, v46
	v_fma_f32 v46, 0x3df6dbef, v40, -v48
	v_fma_f32 v51, 0x3df6dbef, v77, -v78
	v_fmac_f32_e32 v48, 0x3df6dbef, v40
	v_mul_f32_e32 v73, 0xbe750f2a, v39
	v_add_f32_e32 v59, v76, v59
	v_add_f32_e32 v46, v52, v46
	v_fmamk_f32 v52, v77, 0xbf788fa5, v47
	v_add_f32_e32 v51, v56, v51
	v_add_f32_e32 v48, v57, v48
	v_fma_f32 v56, 0xbf788fa5, v40, -v73
	v_mul_f32_e32 v57, 0x3f6f5d39, v74
	v_add_f32_e32 v52, v68, v52
	v_mul_f32_e32 v68, 0x3f6f5d39, v39
	v_mul_f32_e32 v76, 0x3eedf032, v39
	v_add_f32_e32 v56, v58, v56
	v_fmamk_f32 v58, v77, 0xbeb58ec6, v57
	v_fma_f32 v57, 0xbeb58ec6, v77, -v57
	v_fma_f32 v47, 0xbf788fa5, v77, -v47
	v_fmac_f32_e32 v73, 0xbf788fa5, v40
	v_add_f32_e32 v64, v80, v64
	v_add_f32_e32 v58, v67, v58
	v_fma_f32 v67, 0xbeb58ec6, v40, -v68
	v_fmac_f32_e32 v68, 0xbeb58ec6, v40
	v_add_f32_e32 v53, v53, v57
	v_add_f32_e32 v47, v60, v47
	;; [unrolled: 1-line block ×3, first 2 shown]
	v_mul_f32_e32 v62, 0x3eedf032, v74
	v_add_f32_e32 v57, v61, v68
	v_fma_f32 v61, 0x3f62ad3f, v40, -v76
	v_mul_f32_e32 v68, 0xbf52af12, v74
	v_add_f32_e32 v67, v69, v67
	v_fmamk_f32 v73, v77, 0x3f62ad3f, v62
	v_fma_f32 v62, 0x3f62ad3f, v77, -v62
	v_add_f32_e32 v61, v65, v61
	v_fmamk_f32 v65, v77, 0x3f116cb1, v68
	v_fma_f32 v68, 0x3f116cb1, v77, -v68
	v_mul_f32_e32 v69, 0xbf52af12, v39
	v_add_f32_e32 v54, v54, v73
	v_add_f32_e32 v62, v63, v62
	v_mul_f32_e32 v73, 0xbf29c268, v74
	v_add_f32_e32 v68, v70, v68
	v_sub_f32_e32 v70, v38, v42
	v_fma_f32 v63, 0x3f116cb1, v40, -v69
	v_add_f32_e32 v65, v72, v65
	v_fmac_f32_e32 v69, 0x3f116cb1, v40
	v_mul_f32_e32 v39, 0xbf29c268, v39
	v_add_f32_e32 v72, v37, v41
	v_mul_f32_e32 v74, 0xbf6f5d39, v70
	v_sub_f32_e32 v37, v37, v41
	v_fmac_f32_e32 v76, 0x3f62ad3f, v40
	v_add_f32_e32 v69, v71, v69
	v_fma_f32 v71, 0xbf3f9e67, v40, -v39
	v_fma_f32 v41, 0xbf3f9e67, v77, -v73
	v_fmac_f32_e32 v39, 0xbf3f9e67, v40
	v_add_f32_e32 v38, v38, v42
	v_fmamk_f32 v40, v72, 0xbeb58ec6, v74
	v_mul_f32_e32 v42, 0xbf6f5d39, v37
	v_add_f32_e32 v59, v59, v71
	v_add_f32_e32 v41, v43, v41
	;; [unrolled: 1-line block ×4, first 2 shown]
	v_fma_f32 v43, 0xbeb58ec6, v38, -v42
	v_mul_f32_e32 v44, 0x3f29c268, v70
	v_fma_f32 v45, 0xbeb58ec6, v72, -v74
	v_fmac_f32_e32 v42, 0xbeb58ec6, v38
	v_mul_f32_e32 v71, 0x3f29c268, v37
	v_add_f32_e32 v43, v43, v46
	v_fmamk_f32 v46, v72, 0xbf3f9e67, v44
	v_add_f32_e32 v45, v45, v51
	v_add_f32_e32 v42, v42, v48
	v_fma_f32 v48, 0xbf3f9e67, v38, -v71
	v_mul_f32_e32 v51, 0x3eedf032, v70
	v_add_f32_e32 v46, v46, v52
	v_add_f32_e32 v63, v66, v63
	v_fmamk_f32 v66, v77, 0xbf3f9e67, v73
	v_add_f32_e32 v48, v48, v56
	v_fmamk_f32 v52, v72, 0x3f62ad3f, v51
	v_mul_f32_e32 v56, 0x3eedf032, v37
	v_fma_f32 v44, 0xbf3f9e67, v72, -v44
	v_fmac_f32_e32 v71, 0xbf3f9e67, v38
	v_fma_f32 v51, 0x3f62ad3f, v72, -v51
	v_add_f32_e32 v52, v52, v58
	v_fma_f32 v58, 0x3f62ad3f, v38, -v56
	v_fmac_f32_e32 v56, 0x3f62ad3f, v38
	v_mul_f32_e32 v73, 0xbf7e222b, v37
	v_add_f32_e32 v44, v44, v47
	v_add_f32_e32 v47, v71, v60
	v_mul_f32_e32 v60, 0xbf7e222b, v70
	v_add_f32_e32 v51, v51, v53
	v_add_f32_e32 v53, v56, v57
	v_fma_f32 v56, 0x3df6dbef, v38, -v73
	v_mul_f32_e32 v57, 0x3e750f2a, v70
	v_fmamk_f32 v71, v72, 0x3df6dbef, v60
	v_add_f32_e32 v58, v58, v67
	v_fma_f32 v60, 0x3df6dbef, v72, -v60
	v_mul_f32_e32 v67, 0x3e750f2a, v37
	v_add_f32_e32 v56, v56, v61
	v_fmamk_f32 v61, v72, 0xbf788fa5, v57
	v_mul_f32_e32 v70, 0x3f52af12, v70
	v_add_f32_e32 v60, v60, v62
	v_fma_f32 v62, 0xbf788fa5, v38, -v67
	v_fma_f32 v57, 0xbf788fa5, v72, -v57
	v_add_f32_e32 v61, v61, v65
	v_fmac_f32_e32 v67, 0xbf788fa5, v38
	v_sub_f32_e32 v65, v34, v36
	v_add_f32_e32 v66, v75, v66
	v_add_f32_e32 v62, v62, v63
	v_fmamk_f32 v63, v72, 0x3f116cb1, v70
	v_mul_f32_e32 v37, 0x3f52af12, v37
	v_add_f32_e32 v57, v57, v68
	v_add_f32_e32 v67, v67, v69
	;; [unrolled: 1-line block ×3, first 2 shown]
	v_mul_f32_e32 v69, 0xbf29c268, v65
	v_sub_f32_e32 v33, v33, v35
	v_fmac_f32_e32 v73, 0x3df6dbef, v38
	v_add_f32_e32 v63, v63, v66
	v_fma_f32 v66, 0x3f116cb1, v38, -v37
	v_fma_f32 v35, 0x3f116cb1, v72, -v70
	v_fmac_f32_e32 v37, 0x3f116cb1, v38
	v_add_f32_e32 v34, v34, v36
	v_fmamk_f32 v36, v68, 0xbf3f9e67, v69
	v_mul_f32_e32 v38, 0xbf29c268, v33
	v_add_f32_e32 v59, v66, v59
	v_add_f32_e32 v35, v35, v41
	;; [unrolled: 1-line block ×4, first 2 shown]
	v_fma_f32 v39, 0xbf3f9e67, v34, -v38
	v_mul_f32_e32 v40, 0x3f7e222b, v65
	v_fma_f32 v41, 0xbf3f9e67, v68, -v69
	v_fmac_f32_e32 v38, 0xbf3f9e67, v34
	v_mul_f32_e32 v66, 0x3f7e222b, v33
	v_add_f32_e32 v39, v39, v43
	v_fmamk_f32 v43, v68, 0x3df6dbef, v40
	v_add_f32_e32 v41, v41, v45
	v_add_f32_e32 v38, v38, v42
	v_fma_f32 v42, 0x3df6dbef, v34, -v66
	v_mul_f32_e32 v45, 0xbf52af12, v65
	v_fma_f32 v40, 0x3df6dbef, v68, -v40
	v_fmac_f32_e32 v66, 0x3df6dbef, v34
	v_add_f32_e32 v43, v43, v46
	v_add_f32_e32 v42, v42, v48
	v_fmamk_f32 v46, v68, 0x3f116cb1, v45
	v_mul_f32_e32 v48, 0xbf52af12, v33
	v_add_f32_e32 v40, v40, v44
	v_add_f32_e32 v44, v66, v47
	v_mul_f32_e32 v47, 0x3e750f2a, v65
	v_add_f32_e32 v64, v64, v76
	v_add_f32_e32 v54, v71, v54
	;; [unrolled: 1-line block ×3, first 2 shown]
	v_fma_f32 v52, 0x3f116cb1, v34, -v48
	v_fma_f32 v45, 0x3f116cb1, v68, -v45
	v_fmac_f32_e32 v48, 0x3f116cb1, v34
	v_fmamk_f32 v66, v68, 0xbf788fa5, v47
	v_mul_f32_e32 v69, 0x3e750f2a, v33
	v_add_f32_e32 v64, v73, v64
	v_add_f32_e32 v52, v52, v58
	;; [unrolled: 1-line block ×5, first 2 shown]
	v_fma_f32 v53, 0xbf788fa5, v34, -v69
	v_mul_f32_e32 v54, 0x3eedf032, v65
	v_fma_f32 v47, 0xbf788fa5, v68, -v47
	v_fmac_f32_e32 v69, 0xbf788fa5, v34
	v_mul_f32_e32 v58, 0x3eedf032, v33
	v_add_f32_e32 v53, v53, v56
	v_fmamk_f32 v56, v68, 0x3f62ad3f, v54
	v_add_f32_e32 v47, v47, v60
	v_add_f32_e32 v60, v69, v64
	v_fma_f32 v64, 0x3f62ad3f, v34, -v58
	v_mul_f32_e32 v65, 0xbf6f5d39, v65
	v_fma_f32 v54, 0x3f62ad3f, v68, -v54
	v_fmac_f32_e32 v58, 0x3f62ad3f, v34
	v_add_f32_e32 v56, v56, v61
	v_add_f32_e32 v61, v64, v62
	v_fmamk_f32 v62, v68, 0xbeb58ec6, v65
	v_mul_f32_e32 v33, 0xbf6f5d39, v33
	v_add_f32_e32 v54, v54, v57
	v_add_f32_e32 v57, v58, v67
	v_sub_f32_e32 v58, v30, v32
	v_sub_f32_e32 v66, v29, v31
	v_add_f32_e32 v62, v62, v63
	v_fma_f32 v63, 0xbeb58ec6, v34, -v33
	v_add_f32_e32 v64, v29, v31
	v_mul_f32_e32 v31, 0xbe750f2a, v58
	v_fma_f32 v29, 0xbeb58ec6, v68, -v65
	v_fmac_f32_e32 v33, 0xbeb58ec6, v34
	v_add_f32_e32 v65, v30, v32
	v_mul_f32_e32 v32, 0xbe750f2a, v66
	v_fmamk_f32 v30, v64, 0xbf788fa5, v31
	v_add_f32_e32 v59, v63, v59
	v_add_f32_e32 v67, v33, v37
	;; [unrolled: 1-line block ×3, first 2 shown]
	v_fma_f32 v33, 0xbf788fa5, v65, -v32
	v_add_f32_e32 v29, v30, v36
	v_mul_f32_e32 v35, 0x3eedf032, v58
	v_fma_f32 v31, 0xbf788fa5, v64, -v31
	v_fmac_f32_e32 v32, 0xbf788fa5, v65
	v_add_f32_e32 v30, v33, v39
	v_mul_f32_e32 v33, 0x3eedf032, v66
	v_mul_f32_e32 v39, 0xbf29c268, v58
	v_add_f32_e32 v31, v31, v41
	v_add_f32_e32 v32, v32, v38
	v_fma_f32 v37, 0x3f62ad3f, v64, -v35
	v_fma_f32 v36, 0x3f62ad3f, v65, -v33
	v_fmac_f32_e32 v33, 0x3f62ad3f, v65
	v_fmamk_f32 v38, v64, 0xbf3f9e67, v39
	v_mul_f32_e32 v41, 0xbf29c268, v66
	v_fmamk_f32 v34, v64, 0x3f62ad3f, v35
	v_add_f32_e32 v35, v36, v42
	v_add_f32_e32 v36, v37, v40
	;; [unrolled: 1-line block ×4, first 2 shown]
	v_mul_f32_e32 v33, 0x3f52af12, v58
	v_fma_f32 v40, 0xbf3f9e67, v65, -v41
	v_fma_f32 v42, 0xbf3f9e67, v64, -v39
	v_fmac_f32_e32 v41, 0xbf3f9e67, v65
	v_mul_f32_e32 v46, 0x3f52af12, v66
	v_add_f32_e32 v34, v34, v43
	v_fmamk_f32 v43, v64, 0x3f116cb1, v33
	v_add_f32_e32 v39, v40, v52
	v_add_f32_e32 v40, v42, v45
	;; [unrolled: 1-line block ×3, first 2 shown]
	v_fma_f32 v44, 0x3f116cb1, v65, -v46
	v_mul_f32_e32 v45, 0xbf6f5d39, v58
	v_fma_f32 v33, 0x3f116cb1, v64, -v33
	v_mul_f32_e32 v48, 0xbf6f5d39, v66
	v_add_f32_e32 v42, v43, v51
	v_add_f32_e32 v43, v44, v53
	v_fmac_f32_e32 v46, 0x3f116cb1, v65
	v_fmamk_f32 v51, v64, 0xbeb58ec6, v45
	v_add_f32_e32 v44, v33, v47
	v_fma_f32 v33, 0xbeb58ec6, v65, -v48
	v_fma_f32 v52, 0xbeb58ec6, v64, -v45
	v_fmac_f32_e32 v48, 0xbeb58ec6, v65
	v_mul_f32_e32 v53, 0x3f7e222b, v58
	v_mul_f32_e32 v58, 0x3f7e222b, v66
	v_add_f32_e32 v45, v46, v60
	v_add_f32_e32 v46, v51, v56
	;; [unrolled: 1-line block ×5, first 2 shown]
	v_mul_u32_u24_e32 v48, 0x68, v2
	v_lshlrev_b32_e32 v33, 3, v55
	v_fmamk_f32 v54, v64, 0x3df6dbef, v53
	v_fma_f32 v56, 0x3df6dbef, v65, -v58
	v_fma_f32 v57, 0x3df6dbef, v64, -v53
	v_fmac_f32_e32 v58, 0x3df6dbef, v65
	v_add3_u32 v48, 0, v48, v33
	v_add_f32_e32 v53, v54, v62
	v_add_f32_e32 v54, v56, v59
	;; [unrolled: 1-line block ×4, first 2 shown]
	s_mov_b32 s1, exec_lo
	ds_write2_b64 v48, v[49:50], v[29:30] offset1:1
	ds_write2_b64 v48, v[34:35], v[38:39] offset0:2 offset1:3
	ds_write2_b64 v48, v[42:43], v[46:47] offset0:4 offset1:5
	;; [unrolled: 1-line block ×5, first 2 shown]
	ds_write_b64 v48, v[31:32] offset:96
	v_cmpx_eq_u32_e32 0, v2
	s_cbranch_execz .LBB0_15
; %bb.14:
	v_sub_f32_e32 v77, v25, v5
	v_add_f32_e32 v38, v26, v6
	v_sub_f32_e32 v76, v23, v7
	v_add_f32_e32 v36, v24, v8
	v_sub_f32_e32 v75, v17, v9
	v_mul_f32_e32 v50, 0xbe750f2a, v77
	v_add_f32_e32 v34, v18, v10
	v_mul_f32_e32 v51, 0x3eedf032, v76
	v_sub_f32_e32 v72, v11, v13
	v_mul_f32_e32 v46, 0xbf29c268, v75
	v_fma_f32 v29, 0xbf788fa5, v38, -v50
	v_sub_f32_e32 v81, v26, v6
	v_fma_f32 v30, 0x3f62ad3f, v36, -v51
	v_add_f32_e32 v35, v12, v14
	v_sub_f32_e32 v73, v27, v15
	v_add_f32_e32 v29, v4, v29
	v_add_f32_e32 v39, v25, v5
	v_mul_f32_e32 v47, 0x3f52af12, v72
	v_fma_f32 v31, 0xbf3f9e67, v34, -v46
	v_sub_f32_e32 v82, v24, v8
	v_add_f32_e32 v29, v29, v30
	v_mul_f32_e32 v67, 0xbe750f2a, v81
	v_add_f32_e32 v37, v28, v16
	v_mul_f32_e32 v48, 0xbf6f5d39, v73
	v_fma_f32 v30, 0x3f116cb1, v35, -v47
	v_add_f32_e32 v29, v29, v31
	v_add_f32_e32 v41, v23, v7
	v_mul_f32_e32 v66, 0x3eedf032, v82
	v_fmamk_f32 v32, v39, 0xbf788fa5, v67
	v_sub_f32_e32 v83, v18, v10
	v_fma_f32 v31, 0xbeb58ec6, v37, -v48
	v_add_f32_e32 v29, v29, v30
	v_sub_f32_e32 v78, v19, v21
	v_fmamk_f32 v30, v41, 0x3f62ad3f, v66
	v_add_f32_e32 v32, v3, v32
	v_add_f32_e32 v42, v17, v9
	v_mul_f32_e32 v69, 0xbf29c268, v83
	v_sub_f32_e32 v84, v12, v14
	v_add_f32_e32 v29, v29, v31
	v_add_f32_e32 v40, v20, v22
	v_mul_f32_e32 v49, 0x3f7e222b, v78
	v_add_f32_e32 v30, v32, v30
	v_fmamk_f32 v31, v42, 0xbf3f9e67, v69
	v_add_f32_e32 v43, v11, v13
	v_mul_f32_e32 v54, 0x3f52af12, v84
	v_sub_f32_e32 v85, v28, v16
	v_fma_f32 v32, 0x3df6dbef, v40, -v49
	v_add_f32_e32 v31, v30, v31
	v_mul_f32_e32 v63, 0xbf29c268, v77
	v_fmamk_f32 v45, v43, 0x3f116cb1, v54
	v_add_f32_e32 v44, v27, v15
	v_mul_f32_e32 v59, 0xbf6f5d39, v85
	v_add_f32_e32 v30, v29, v32
	v_mul_f32_e32 v65, 0x3f7e222b, v76
	v_add_f32_e32 v29, v31, v45
	v_fma_f32 v31, 0xbf3f9e67, v38, -v63
	v_fmamk_f32 v32, v44, 0xbeb58ec6, v59
	v_mul_f32_e32 v60, 0xbf29c268, v81
	v_fma_f32 v53, 0x3df6dbef, v36, -v65
	v_mul_f32_e32 v70, 0xbf52af12, v75
	v_add_f32_e32 v31, v4, v31
	v_add_f32_e32 v29, v29, v32
	v_fmamk_f32 v32, v39, 0xbf3f9e67, v60
	v_mul_f32_e32 v52, 0x3f7e222b, v82
	v_fma_f32 v56, 0x3f116cb1, v34, -v70
	v_add_f32_e32 v31, v31, v53
	v_mul_f32_e32 v57, 0x3e750f2a, v72
	v_add_f32_e32 v32, v3, v32
	v_fmamk_f32 v61, v41, 0x3df6dbef, v52
	v_mul_f32_e32 v53, 0xbf52af12, v83
	v_add_f32_e32 v31, v31, v56
	v_fma_f32 v64, 0xbf788fa5, v35, -v57
	v_mul_f32_e32 v58, 0x3eedf032, v73
	v_add_f32_e32 v32, v32, v61
	v_fmamk_f32 v61, v42, 0x3f116cb1, v53
	v_mul_f32_e32 v56, 0x3e750f2a, v84
	v_sub_f32_e32 v80, v20, v22
	v_add_f32_e32 v31, v31, v64
	v_fma_f32 v64, 0x3f62ad3f, v37, -v58
	v_add_f32_e32 v32, v32, v61
	v_fmamk_f32 v74, v43, 0xbf788fa5, v56
	v_mul_f32_e32 v61, 0x3eedf032, v85
	v_add_f32_e32 v45, v19, v21
	v_mul_f32_e32 v62, 0x3f7e222b, v80
	v_mul_f32_e32 v68, 0xbf6f5d39, v78
	v_add_f32_e32 v31, v31, v64
	v_mul_f32_e32 v71, 0xbf6f5d39, v77
	v_add_f32_e32 v32, v32, v74
	v_fmamk_f32 v86, v44, 0x3f62ad3f, v61
	v_mul_f32_e32 v64, 0xbf6f5d39, v80
	v_fmamk_f32 v79, v45, 0x3df6dbef, v62
	v_fma_f32 v87, 0xbeb58ec6, v40, -v68
	v_fma_f32 v88, 0xbeb58ec6, v38, -v71
	v_mul_f32_e32 v74, 0x3f29c268, v76
	v_add_f32_e32 v86, v32, v86
	v_fmamk_f32 v89, v45, 0xbeb58ec6, v64
	v_add_f32_e32 v29, v29, v79
	v_add_f32_e32 v32, v31, v87
	;; [unrolled: 1-line block ×3, first 2 shown]
	v_fma_f32 v88, 0xbf3f9e67, v36, -v74
	v_add_f32_e32 v31, v86, v89
	v_mul_f32_e32 v79, 0x3eedf032, v75
	v_add_f32_e32 v26, v4, v26
	v_add_f32_e32 v25, v3, v25
	v_mul_f32_e32 v86, 0xbf6f5d39, v81
	v_add_f32_e32 v87, v87, v88
	v_fma_f32 v88, 0x3f62ad3f, v34, -v79
	v_add_f32_e32 v24, v26, v24
	v_add_f32_e32 v23, v25, v23
	v_fmamk_f32 v25, v39, 0xbeb58ec6, v86
	v_mul_f32_e32 v26, 0x3f29c268, v82
	v_mul_f32_e32 v89, 0xbf7e222b, v72
	v_add_f32_e32 v87, v87, v88
	v_add_f32_e32 v18, v24, v18
	;; [unrolled: 1-line block ×3, first 2 shown]
	v_fmamk_f32 v25, v41, 0xbf3f9e67, v26
	v_mul_f32_e32 v88, 0x3eedf032, v83
	v_add_f32_e32 v17, v23, v17
	v_fma_f32 v23, 0x3df6dbef, v35, -v89
	v_mul_f32_e32 v90, 0x3e750f2a, v73
	v_add_f32_e32 v24, v24, v25
	v_fmamk_f32 v25, v42, 0x3f62ad3f, v88
	v_mul_f32_e32 v91, 0xbf7e222b, v84
	v_add_f32_e32 v12, v18, v12
	v_add_f32_e32 v18, v87, v23
	v_fma_f32 v23, 0xbf788fa5, v37, -v90
	v_add_f32_e32 v24, v24, v25
	v_fmamk_f32 v25, v43, 0x3df6dbef, v91
	v_mul_f32_e32 v87, 0x3e750f2a, v85
	v_mul_f32_e32 v92, 0x3f52af12, v78
	v_add_f32_e32 v11, v17, v11
	v_add_f32_e32 v17, v18, v23
	;; [unrolled: 1-line block ×3, first 2 shown]
	v_fmamk_f32 v23, v44, 0xbf788fa5, v87
	v_fma_f32 v24, 0x3f116cb1, v40, -v92
	v_mul_f32_e32 v25, 0xbf7e222b, v77
	v_add_f32_e32 v28, v12, v28
	v_add_f32_e32 v11, v11, v27
	;; [unrolled: 1-line block ×4, first 2 shown]
	v_fma_f32 v17, 0x3df6dbef, v38, -v25
	v_mul_f32_e32 v23, 0xbe750f2a, v76
	v_mul_f32_e32 v24, 0x3f52af12, v80
	v_add_f32_e32 v20, v28, v20
	v_add_f32_e32 v11, v11, v19
	;; [unrolled: 1-line block ×3, first 2 shown]
	v_fma_f32 v19, 0xbf788fa5, v36, -v23
	v_mul_f32_e32 v27, 0x3f6f5d39, v75
	v_fmamk_f32 v28, v45, 0x3f116cb1, v24
	v_add_f32_e32 v20, v20, v22
	v_add_f32_e32 v21, v11, v21
	;; [unrolled: 1-line block ×3, first 2 shown]
	v_fma_f32 v19, 0xbeb58ec6, v34, -v27
	v_mul_f32_e32 v22, 0xbf7e222b, v81
	v_add_f32_e32 v11, v18, v28
	v_add_f32_e32 v16, v16, v20
	v_add_f32_e32 v15, v15, v21
	v_add_f32_e32 v17, v17, v19
	v_fmamk_f32 v18, v39, 0x3df6dbef, v22
	v_mul_f32_e32 v19, 0xbe750f2a, v82
	v_add_f32_e32 v14, v14, v16
	v_add_f32_e32 v13, v13, v15
	v_mul_f32_e32 v21, 0x3eedf032, v72
	v_add_f32_e32 v15, v3, v18
	v_fmamk_f32 v16, v41, 0xbf788fa5, v19
	v_mul_f32_e32 v28, 0x3f6f5d39, v83
	v_add_f32_e32 v10, v10, v14
	v_add_f32_e32 v9, v9, v13
	v_fma_f32 v13, 0x3f62ad3f, v35, -v21
	v_add_f32_e32 v14, v15, v16
	v_fmamk_f32 v15, v42, 0xbeb58ec6, v28
	v_mul_f32_e32 v94, 0xbf52af12, v73
	v_add_f32_e32 v7, v7, v9
	v_add_f32_e32 v13, v17, v13
	v_mul_f32_e32 v99, 0xbf52af12, v81
	v_add_f32_e32 v9, v14, v15
	v_fma_f32 v14, 0x3f116cb1, v37, -v94
	v_add_f32_e32 v5, v5, v7
	v_mul_f32_e32 v101, 0xbf6f5d39, v82
	v_mul_f32_e32 v93, 0x3eedf032, v84
	;; [unrolled: 1-line block ×3, first 2 shown]
	v_add_f32_e32 v7, v13, v14
	v_fmamk_f32 v14, v39, 0x3f116cb1, v99
	v_fmamk_f32 v16, v41, 0xbeb58ec6, v101
	v_add_f32_e32 v8, v8, v10
	v_fmamk_f32 v10, v43, 0x3f62ad3f, v93
	v_mul_f32_e32 v95, 0xbf52af12, v85
	v_add_f32_e32 v14, v3, v14
	v_mul_f32_e32 v105, 0x3f29c268, v84
	v_add_f32_e32 v6, v6, v8
	v_add_f32_e32 v8, v9, v10
	v_fmamk_f32 v9, v44, 0x3f116cb1, v95
	v_add_f32_e32 v14, v14, v16
	v_fmamk_f32 v16, v42, 0xbf788fa5, v103
	v_mul_f32_e32 v96, 0xbf29c268, v78
	v_mul_f32_e32 v97, 0xbf52af12, v77
	;; [unrolled: 1-line block ×4, first 2 shown]
	v_add_f32_e32 v14, v14, v16
	v_fmamk_f32 v16, v43, 0xbf3f9e67, v105
	v_add_f32_e32 v9, v8, v9
	v_fma_f32 v8, 0xbf3f9e67, v40, -v96
	v_fma_f32 v10, 0x3f116cb1, v38, -v97
	v_mul_f32_e32 v100, 0xbf6f5d39, v76
	v_fmamk_f32 v13, v45, 0xbf3f9e67, v98
	v_add_f32_e32 v14, v14, v16
	v_fmamk_f32 v16, v44, 0x3df6dbef, v107
	v_mul_f32_e32 v77, 0xbeedf032, v77
	v_add_f32_e32 v10, v4, v10
	v_fma_f32 v15, 0xbeb58ec6, v36, -v100
	v_mul_f32_e32 v102, 0xbe750f2a, v75
	v_add_f32_e32 v8, v7, v8
	v_add_f32_e32 v7, v9, v13
	;; [unrolled: 1-line block ×3, first 2 shown]
	v_mul_f32_e32 v81, 0xbeedf032, v81
	v_fma_f32 v14, 0x3f62ad3f, v38, -v77
	v_mul_f32_e32 v76, 0xbf52af12, v76
	v_add_f32_e32 v10, v10, v15
	v_fma_f32 v15, 0xbf788fa5, v34, -v102
	v_mul_f32_e32 v104, 0x3f29c268, v72
	v_fmamk_f32 v16, v39, 0x3f62ad3f, v81
	v_mul_f32_e32 v82, 0xbf52af12, v82
	v_add_f32_e32 v14, v4, v14
	v_fma_f32 v17, 0x3f116cb1, v36, -v76
	v_mul_f32_e32 v75, 0xbf7e222b, v75
	v_add_f32_e32 v10, v10, v15
	v_fma_f32 v15, 0xbf3f9e67, v35, -v104
	v_mul_f32_e32 v106, 0x3f7e222b, v73
	v_add_f32_e32 v16, v3, v16
	v_fmamk_f32 v18, v41, 0x3f116cb1, v82
	v_mul_f32_e32 v83, 0xbf7e222b, v83
	v_add_f32_e32 v14, v14, v17
	v_fma_f32 v17, 0x3df6dbef, v34, -v75
	v_mul_f32_e32 v72, 0xbf6f5d39, v72
	v_add_f32_e32 v10, v10, v15
	v_fma_f32 v15, 0x3df6dbef, v37, -v106
	v_mul_f32_e32 v108, 0x3eedf032, v78
	v_mul_f32_e32 v109, 0x3eedf032, v80
	v_add_f32_e32 v16, v16, v18
	v_fmamk_f32 v18, v42, 0x3df6dbef, v83
	v_mul_f32_e32 v84, 0xbf6f5d39, v84
	v_add_f32_e32 v14, v14, v17
	v_fma_f32 v17, 0xbeb58ec6, v35, -v72
	v_mul_f32_e32 v73, 0xbf29c268, v73
	v_add_f32_e32 v9, v10, v15
	v_fma_f32 v10, 0x3f62ad3f, v40, -v108
	v_fmamk_f32 v15, v45, 0x3f62ad3f, v109
	v_add_f32_e32 v16, v16, v18
	v_fmamk_f32 v18, v43, 0xbeb58ec6, v84
	v_mul_f32_e32 v85, 0xbf29c268, v85
	v_add_f32_e32 v14, v14, v17
	v_fma_f32 v17, 0xbf3f9e67, v37, -v73
	v_add_f32_e32 v10, v9, v10
	v_add_f32_e32 v16, v16, v18
	v_fmamk_f32 v18, v44, 0xbf3f9e67, v85
	v_add_f32_e32 v9, v13, v15
	v_add_f32_e32 v13, v14, v17
	v_mul_f32_e32 v78, 0xbe750f2a, v78
	v_fmac_f32_e32 v50, 0xbf788fa5, v38
	v_fma_f32 v14, 0xbf788fa5, v39, -v67
	v_add_f32_e32 v15, v16, v18
	v_mul_f32_e32 v67, 0xbe750f2a, v80
	v_fma_f32 v16, 0xbf788fa5, v40, -v78
	v_add_f32_e32 v17, v4, v50
	v_fmac_f32_e32 v51, 0x3f62ad3f, v36
	v_add_f32_e32 v18, v3, v14
	v_fma_f32 v20, 0x3f62ad3f, v41, -v66
	v_add_f32_e32 v14, v13, v16
	v_fmamk_f32 v13, v45, 0xbf788fa5, v67
	v_add_f32_e32 v16, v17, v51
	v_fmac_f32_e32 v46, 0xbf3f9e67, v34
	v_add_f32_e32 v17, v18, v20
	v_fma_f32 v18, 0xbf3f9e67, v42, -v69
	v_fmac_f32_e32 v63, 0xbf3f9e67, v38
	v_add_f32_e32 v13, v15, v13
	v_add_f32_e32 v15, v16, v46
	v_fmac_f32_e32 v47, 0x3f116cb1, v35
	v_add_f32_e32 v16, v17, v18
	v_fma_f32 v17, 0x3f116cb1, v43, -v54
	v_add_f32_e32 v18, v4, v63
	v_fmac_f32_e32 v65, 0x3df6dbef, v36
	v_add_f32_e32 v15, v15, v47
	v_fmac_f32_e32 v48, 0xbeb58ec6, v37
	v_add_f32_e32 v16, v16, v17
	v_fma_f32 v17, 0xbeb58ec6, v44, -v59
	v_add_f32_e32 v18, v18, v65
	v_fmac_f32_e32 v70, 0x3f116cb1, v34
	;; [unrolled: 6-line block ×3, first 2 shown]
	v_add_f32_e32 v16, v15, v49
	v_fma_f32 v46, 0xbf3f9e67, v39, -v60
	v_add_f32_e32 v15, v17, v20
	v_fmac_f32_e32 v58, 0x3f62ad3f, v37
	v_add_f32_e32 v17, v18, v57
	v_fma_f32 v20, 0x3df6dbef, v41, -v52
	v_add_f32_e32 v18, v3, v46
	v_fmac_f32_e32 v68, 0xbeb58ec6, v40
	v_fma_f32 v47, 0xbeb58ec6, v39, -v86
	v_add_f32_e32 v17, v17, v58
	v_fmac_f32_e32 v25, 0x3df6dbef, v38
	v_fma_f32 v22, 0x3df6dbef, v39, -v22
	v_add_f32_e32 v20, v18, v20
	v_fma_f32 v26, 0xbf3f9e67, v41, -v26
	v_add_f32_e32 v18, v17, v68
	v_add_f32_e32 v17, v3, v47
	;; [unrolled: 1-line block ×3, first 2 shown]
	v_fmac_f32_e32 v23, 0xbf788fa5, v36
	v_add_f32_e32 v22, v3, v22
	v_fma_f32 v19, 0xbf788fa5, v41, -v19
	v_add_f32_e32 v17, v17, v26
	v_fma_f32 v26, 0x3f62ad3f, v42, -v88
	v_fmac_f32_e32 v97, 0x3f116cb1, v38
	v_add_f32_e32 v23, v25, v23
	v_fmac_f32_e32 v27, 0xbeb58ec6, v34
	v_add_f32_e32 v19, v22, v19
	v_fma_f32 v22, 0xbeb58ec6, v42, -v28
	v_fma_f32 v48, 0x3f116cb1, v42, -v53
	v_add_f32_e32 v17, v17, v26
	v_fma_f32 v26, 0x3df6dbef, v43, -v91
	v_add_f32_e32 v25, v4, v97
	v_fmac_f32_e32 v100, 0xbeb58ec6, v36
	v_add_f32_e32 v23, v23, v27
	v_fmac_f32_e32 v21, 0x3f62ad3f, v35
	v_add_f32_e32 v19, v19, v22
	v_fma_f32 v22, 0x3f62ad3f, v43, -v93
	v_add_f32_e32 v20, v20, v48
	v_add_f32_e32 v26, v17, v26
	v_fma_f32 v48, 0xbf788fa5, v44, -v87
	v_add_f32_e32 v25, v25, v100
	v_fmac_f32_e32 v102, 0xbf788fa5, v34
	v_add_f32_e32 v21, v23, v21
	v_fmac_f32_e32 v94, 0x3f116cb1, v37
	v_add_f32_e32 v19, v19, v22
	v_fma_f32 v22, 0x3f116cb1, v44, -v95
	v_add_f32_e32 v26, v26, v48
	v_fma_f32 v24, 0x3f116cb1, v45, -v24
	v_add_f32_e32 v23, v25, v102
	v_add_f32_e32 v21, v21, v94
	v_fmac_f32_e32 v96, 0xbf3f9e67, v40
	v_add_f32_e32 v25, v19, v22
	v_fma_f32 v27, 0xbf3f9e67, v45, -v98
	v_fmac_f32_e32 v71, 0xbeb58ec6, v38
	v_add_f32_e32 v19, v26, v24
	v_add_f32_e32 v22, v21, v96
	v_fma_f32 v24, 0x3f116cb1, v39, -v99
	v_add_f32_e32 v21, v25, v27
	v_fmac_f32_e32 v77, 0x3f62ad3f, v38
	v_fma_f32 v25, 0x3f62ad3f, v39, -v81
	v_add_f32_e32 v46, v4, v71
	v_fmac_f32_e32 v74, 0xbf3f9e67, v36
	v_add_f32_e32 v24, v3, v24
	v_fma_f32 v26, 0xbeb58ec6, v41, -v101
	v_add_f32_e32 v4, v4, v77
	v_fmac_f32_e32 v76, 0x3f116cb1, v36
	v_add_f32_e32 v3, v3, v25
	;; [unrolled: 4-line block ×4, first 2 shown]
	v_fma_f32 v25, 0x3df6dbef, v42, -v83
	v_fma_f32 v47, 0xbf788fa5, v43, -v56
	v_add_f32_e32 v46, v46, v79
	v_fmac_f32_e32 v89, 0x3df6dbef, v35
	v_fmac_f32_e32 v104, 0xbf3f9e67, v35
	v_add_f32_e32 v24, v24, v26
	v_fma_f32 v26, 0xbf3f9e67, v43, -v105
	v_add_f32_e32 v4, v4, v75
	v_fmac_f32_e32 v72, 0xbeb58ec6, v35
	v_add_f32_e32 v3, v3, v25
	v_fma_f32 v25, 0xbeb58ec6, v43, -v84
	v_add_f32_e32 v20, v20, v47
	v_fma_f32 v47, 0x3f62ad3f, v44, -v61
	v_add_f32_e32 v46, v46, v89
	v_fmac_f32_e32 v90, 0xbf788fa5, v37
	v_add_f32_e32 v23, v23, v104
	v_fmac_f32_e32 v106, 0x3df6dbef, v37
	v_add_f32_e32 v24, v24, v26
	v_fma_f32 v26, 0x3df6dbef, v44, -v107
	v_add_f32_e32 v4, v4, v72
	v_fmac_f32_e32 v73, 0xbf3f9e67, v37
	v_add_f32_e32 v3, v3, v25
	v_fma_f32 v25, 0xbf3f9e67, v44, -v85
	v_add_f32_e32 v20, v20, v47
	v_fma_f32 v47, 0xbeb58ec6, v45, -v64
	v_add_f32_e32 v46, v46, v90
	v_fmac_f32_e32 v92, 0x3f116cb1, v40
	v_add_f32_e32 v23, v23, v106
	v_fmac_f32_e32 v108, 0x3f62ad3f, v40
	v_add_f32_e32 v24, v24, v26
	v_fma_f32 v26, 0x3f62ad3f, v45, -v109
	v_add_f32_e32 v27, v4, v73
	v_fmac_f32_e32 v78, 0xbf788fa5, v40
	v_add_f32_e32 v25, v3, v25
	v_fma_f32 v28, 0xbf788fa5, v45, -v67
	v_lshl_add_u32 v34, v55, 3, 0
	v_add_f32_e32 v17, v20, v47
	v_add_f32_e32 v20, v46, v92
	;; [unrolled: 1-line block ×6, first 2 shown]
	ds_write2_b64 v34, v[5:6], v[13:14] offset0:169 offset1:170
	ds_write2_b64 v34, v[9:10], v[7:8] offset0:171 offset1:172
	;; [unrolled: 1-line block ×6, first 2 shown]
	ds_write_b64 v34, v[23:24] offset:1448
.LBB0_15:
	s_or_b32 exec_lo, exec_lo, s1
	v_add_nc_u16 v5, v2, 26
	v_mov_b32_e32 v3, 0
	v_add_nc_u16 v6, v2, 39
	v_add_nc_u16 v7, v2, 52
	;; [unrolled: 1-line block ×3, first 2 shown]
	v_and_b32_e32 v4, 0xff, v5
	v_add_nc_u16 v9, v2, 0x4e
	v_and_b32_e32 v11, 0xff, v6
	v_and_b32_e32 v12, 0xff, v7
	;; [unrolled: 1-line block ×3, first 2 shown]
	v_mul_lo_u16 v10, 0x4f, v4
	v_lshlrev_b64 v[3:4], 3, v[2:3]
	v_mul_lo_u16 v11, 0x4f, v11
	v_and_b32_e32 v14, 0xff, v9
	v_mul_lo_u16 v12, 0x4f, v12
	v_lshrrev_b16 v10, 10, v10
	v_mul_lo_u16 v13, 0x4f, v13
	v_add_co_u32 v3, s0, s8, v3
	v_add_co_ci_u32_e64 v4, s0, s9, v4, s0
	v_mul_lo_u16 v10, v10, 13
	s_waitcnt lgkmcnt(0)
	s_barrier
	buffer_gl0_inv
	global_load_dwordx2 v[29:30], v[3:4], off
	v_lshrrev_b16 v3, 10, v11
	v_mul_lo_u16 v4, 0x4f, v14
	v_lshrrev_b16 v11, 10, v12
	v_sub_nc_u16 v5, v5, v10
	v_lshrrev_b16 v10, 10, v13
	v_mul_lo_u16 v3, v3, 13
	v_lshrrev_b16 v4, 10, v4
	v_mul_lo_u16 v11, v11, 13
	v_mov_b32_e32 v12, 3
	v_mul_lo_u16 v10, v10, 13
	v_sub_nc_u16 v3, v6, v3
	v_mul_lo_u16 v4, v4, 13
	v_sub_nc_u16 v6, v7, v11
	v_lshlrev_b32_sdwa v46, v12, v5 dst_sel:DWORD dst_unused:UNUSED_PAD src0_sel:DWORD src1_sel:BYTE_0
	v_sub_nc_u16 v5, v8, v10
	v_lshlrev_b32_sdwa v47, v12, v3 dst_sel:DWORD dst_unused:UNUSED_PAD src0_sel:DWORD src1_sel:BYTE_0
	;; [unrolled: 2-line block ×3, first 2 shown]
	global_load_dwordx2 v[31:32], v46, s[8:9]
	v_lshlrev_b32_sdwa v49, v12, v5 dst_sel:DWORD dst_unused:UNUSED_PAD src0_sel:DWORD src1_sel:BYTE_0
	global_load_dwordx2 v[34:35], v47, s[8:9]
	v_lshlrev_b32_sdwa v50, v12, v3 dst_sel:DWORD dst_unused:UNUSED_PAD src0_sel:DWORD src1_sel:BYTE_0
	s_clause 0x2
	global_load_dwordx2 v[36:37], v48, s[8:9]
	global_load_dwordx2 v[38:39], v49, s[8:9]
	;; [unrolled: 1-line block ×3, first 2 shown]
	v_lshlrev_b32_e32 v4, 3, v2
	v_add3_u32 v3, 0, v4, v33
	v_add_nc_u32_e32 v33, 0, v33
	ds_read2_b64 v[5:8], v3 offset0:91 offset1:104
	v_add_nc_u32_e32 v4, v33, v4
	ds_read2_b64 v[9:12], v3 offset0:13 offset1:26
	ds_read2_b64 v[13:16], v3 offset0:117 offset1:130
	ds_read_b64 v[42:43], v4
	ds_read2_b64 v[17:20], v3 offset0:39 offset1:52
	ds_read2_b64 v[21:24], v3 offset0:143 offset1:156
	;; [unrolled: 1-line block ×3, first 2 shown]
	ds_read_b64 v[44:45], v3 offset:1352
	v_add_nc_u32_e32 v46, v33, v46
	v_add_nc_u32_e32 v47, v33, v47
	;; [unrolled: 1-line block ×5, first 2 shown]
	s_waitcnt vmcnt(0) lgkmcnt(0)
	s_barrier
	buffer_gl0_inv
	v_mul_f32_e32 v51, v30, v6
	v_mul_f32_e32 v52, v30, v5
	;; [unrolled: 1-line block ×4, first 2 shown]
	v_fmac_f32_e32 v51, v29, v5
	v_fma_f32 v6, v29, v6, -v52
	v_fmac_f32_e32 v53, v29, v7
	v_fma_f32 v8, v29, v8, -v30
	v_sub_f32_e32 v5, v42, v51
	v_sub_f32_e32 v6, v43, v6
	v_sub_f32_e32 v7, v9, v53
	v_sub_f32_e32 v8, v10, v8
	v_fma_f32 v29, v42, 2.0, -v5
	v_fma_f32 v30, v43, 2.0, -v6
	;; [unrolled: 1-line block ×4, first 2 shown]
	v_mul_f32_e32 v42, v32, v14
	v_mul_f32_e32 v32, v32, v13
	;; [unrolled: 1-line block ×10, first 2 shown]
	ds_write2_b64 v3, v[29:30], v[5:6] offset1:13
	ds_write2_b64 v3, v[9:10], v[7:8] offset0:26 offset1:39
	v_fmac_f32_e32 v42, v31, v13
	v_fma_f32 v6, v31, v14, -v32
	v_fmac_f32_e32 v43, v34, v15
	v_fma_f32 v8, v34, v16, -v35
	;; [unrolled: 2-line block ×5, first 2 shown]
	v_sub_f32_e32 v5, v11, v42
	v_sub_f32_e32 v6, v12, v6
	v_sub_f32_e32 v7, v17, v43
	v_sub_f32_e32 v8, v18, v8
	v_sub_f32_e32 v9, v19, v50
	v_sub_f32_e32 v10, v20, v10
	v_sub_f32_e32 v13, v25, v51
	v_sub_f32_e32 v14, v26, v14
	v_sub_f32_e32 v15, v27, v52
	v_sub_f32_e32 v16, v28, v16
	v_fma_f32 v11, v11, 2.0, -v5
	v_fma_f32 v12, v12, 2.0, -v6
	v_fma_f32 v17, v17, 2.0, -v7
	v_fma_f32 v18, v18, 2.0, -v8
	v_fma_f32 v19, v19, 2.0, -v9
	v_fma_f32 v20, v20, 2.0, -v10
	v_fma_f32 v21, v25, 2.0, -v13
	v_fma_f32 v22, v26, 2.0, -v14
	v_fma_f32 v23, v27, 2.0, -v15
	v_fma_f32 v24, v28, 2.0, -v16
	ds_write2_b64 v46, v[11:12], v[5:6] offset0:52 offset1:65
	ds_write2_b64 v47, v[17:18], v[7:8] offset0:78 offset1:91
	;; [unrolled: 1-line block ×5, first 2 shown]
	s_waitcnt lgkmcnt(0)
	s_barrier
	buffer_gl0_inv
	s_and_saveexec_b32 s0, vcc_lo
	s_cbranch_execz .LBB0_17
; %bb.16:
	v_mul_u32_u24_e32 v5, 6, v2
	v_add_nc_u32_e32 v6, 13, v2
	v_mul_hi_u32 v29, 0x4ec4ec4f, v2
	v_add_nc_u32_e32 v55, 13, v2
	v_add_co_u32 v88, vcc_lo, s12, v0
	v_lshlrev_b32_e32 v25, 3, v5
	v_mul_u32_u24_e32 v13, 6, v6
	v_mul_hi_u32 v56, 0x4ec4ec4f, v55
	v_add_co_ci_u32_e32 v89, vcc_lo, s13, v1, vcc_lo
	s_clause 0x1
	global_load_dwordx4 v[5:8], v25, s[8:9] offset:136
	global_load_dwordx4 v[9:12], v25, s[8:9] offset:120
	v_lshlrev_b32_e32 v21, 3, v13
	v_lshrrev_b32_e32 v37, 3, v29
	s_clause 0x3
	global_load_dwordx4 v[13:16], v21, s[8:9] offset:104
	global_load_dwordx4 v[17:20], v21, s[8:9] offset:136
	;; [unrolled: 1-line block ×4, first 2 shown]
	v_mul_lo_u32 v57, v37, 26
	ds_read2_b64 v[29:32], v3 offset0:39 offset1:52
	ds_read2_b64 v[33:36], v3 offset0:117 offset1:130
	;; [unrolled: 1-line block ×6, first 2 shown]
	ds_read_b64 v[53:54], v3 offset:1352
	ds_read_b64 v[3:4], v4
	v_lshrrev_b32_e32 v67, 3, v56
	v_sub_nc_u32_e32 v69, v2, v57
	v_mul_lo_u32 v2, v67, 26
	v_add_nc_u32_e32 v70, 26, v69
	v_add_nc_u32_e32 v72, 52, v69
	v_add_nc_u32_e32 v73, 0x4e, v69
	v_add_nc_u32_e32 v74, 0x68, v69
	v_mad_u64_u32 v[0:1], null, s2, v69, 0
	v_add_nc_u32_e32 v75, 0x82, v69
	v_add_nc_u32_e32 v76, 0x9c, v69
	v_sub_nc_u32_e32 v2, v55, v2
	v_mad_u64_u32 v[55:56], null, s2, v70, 0
	v_mad_u64_u32 v[57:58], null, s2, v72, 0
	;; [unrolled: 1-line block ×6, first 2 shown]
	s_waitcnt lgkmcnt(0)
	v_mad_u64_u32 v[67:68], null, 0xb6, v67, v[2:3]
	v_mad_u64_u32 v[1:2], null, s3, v69, v[1:2]
	v_mov_b32_e32 v2, v56
	v_mov_b32_e32 v56, v58
	;; [unrolled: 1-line block ×6, first 2 shown]
	v_mad_u64_u32 v[70:71], null, s3, v70, v[2:3]
	v_mad_u64_u32 v[68:69], null, s2, v67, 0
	v_add_nc_u32_e32 v90, 26, v67
	v_mad_u64_u32 v[71:72], null, s3, v72, v[56:57]
	v_add_nc_u32_e32 v91, 52, v67
	v_mad_u64_u32 v[72:73], null, s3, v73, v[58:59]
	v_mad_u64_u32 v[73:74], null, s3, v74, v[60:61]
	;; [unrolled: 1-line block ×6, first 2 shown]
	v_add_nc_u32_e32 v92, 0x4e, v67
	v_add_nc_u32_e32 v93, 0x68, v67
	v_mov_b32_e32 v2, v69
	v_mov_b32_e32 v56, v70
	v_add_nc_u32_e32 v94, 0x82, v67
	v_mad_u64_u32 v[80:81], null, s2, v92, 0
	v_mad_u64_u32 v[82:83], null, s2, v93, 0
	v_mad_u64_u32 v[69:70], null, s3, v67, v[2:3]
	v_mov_b32_e32 v2, v77
	v_add_nc_u32_e32 v95, 0x9c, v67
	v_mov_b32_e32 v67, v79
	v_mov_b32_e32 v60, v72
	;; [unrolled: 1-line block ×3, first 2 shown]
	v_mad_u64_u32 v[72:73], null, s3, v90, v[2:3]
	v_mov_b32_e32 v64, v74
	v_mad_u64_u32 v[73:74], null, s3, v91, v[67:68]
	v_mov_b32_e32 v58, v71
	v_mov_b32_e32 v70, v81
	;; [unrolled: 1-line block ×4, first 2 shown]
	v_lshlrev_b64 v[67:68], 3, v[68:69]
	v_mov_b32_e32 v77, v72
	v_mov_b32_e32 v79, v73
	v_mad_u64_u32 v[74:75], null, s3, v92, v[70:71]
	v_mad_u64_u32 v[70:71], null, s3, v93, v[71:72]
	v_lshlrev_b64 v[71:72], 3, v[76:77]
	v_lshlrev_b64 v[0:1], 3, v[0:1]
	;; [unrolled: 1-line block ×7, first 2 shown]
	v_add_co_u32 v0, vcc_lo, v88, v0
	v_add_co_ci_u32_e32 v1, vcc_lo, v89, v1, vcc_lo
	v_add_co_u32 v55, vcc_lo, v88, v55
	v_add_co_ci_u32_e32 v56, vcc_lo, v89, v56, vcc_lo
	;; [unrolled: 2-line block ×4, first 2 shown]
	v_lshlrev_b64 v[65:66], 3, v[65:66]
	v_add_co_u32 v61, vcc_lo, v88, v61
	v_add_co_ci_u32_e32 v62, vcc_lo, v89, v62, vcc_lo
	v_add_co_u32 v63, vcc_lo, v88, v63
	v_add_co_ci_u32_e32 v64, vcc_lo, v89, v64, vcc_lo
	v_add_co_u32 v65, vcc_lo, v88, v65
	v_mad_u64_u32 v[84:85], null, s2, v94, 0
	v_add_co_ci_u32_e32 v66, vcc_lo, v89, v66, vcc_lo
	v_add_co_u32 v67, vcc_lo, v88, v67
	v_add_co_ci_u32_e32 v68, vcc_lo, v89, v68, vcc_lo
	v_mad_u64_u32 v[86:87], null, s2, v95, 0
	v_add_co_u32 v71, vcc_lo, v88, v71
	v_add_co_ci_u32_e32 v72, vcc_lo, v89, v72, vcc_lo
	s_waitcnt vmcnt(5)
	v_mul_f32_e32 v2, v8, v48
	s_waitcnt vmcnt(4)
	v_mul_f32_e32 v69, v12, v40
	v_mul_f32_e32 v73, v10, v44
	;; [unrolled: 1-line block ×7, first 2 shown]
	s_waitcnt vmcnt(3)
	v_mul_f32_e32 v76, v14, v30
	s_waitcnt vmcnt(2)
	v_mul_f32_e32 v77, v20, v54
	;; [unrolled: 2-line block ×3, first 2 shown]
	v_mul_f32_e32 v83, v22, v38
	v_mul_f32_e32 v90, v16, v42
	;; [unrolled: 1-line block ×9, first 2 shown]
	v_fmac_f32_e32 v69, v11, v39
	v_fmac_f32_e32 v73, v9, v43
	v_fma_f32 v9, v9, v44, -v10
	v_fma_f32 v10, v11, v40, -v12
	s_waitcnt vmcnt(0)
	v_mul_f32_e32 v11, v26, v52
	v_fmac_f32_e32 v2, v7, v47
	v_mul_f32_e32 v12, v28, v32
	v_fmac_f32_e32 v75, v5, v35
	v_fma_f32 v7, v7, v48, -v8
	v_mul_f32_e32 v8, v26, v51
	v_fma_f32 v5, v5, v36, -v6
	v_mul_f32_e32 v6, v28, v31
	v_fmac_f32_e32 v76, v13, v29
	v_fmac_f32_e32 v77, v19, v53
	;; [unrolled: 1-line block ×6, first 2 shown]
	v_fma_f32 v19, v19, v54, -v20
	v_fma_f32 v13, v13, v30, -v14
	v_fma_f32 v14, v21, v38, -v22
	v_fma_f32 v20, v23, v34, -v24
	v_fma_f32 v17, v17, v46, -v18
	v_fma_f32 v15, v15, v42, -v16
	v_fmac_f32_e32 v11, v25, v51
	v_fmac_f32_e32 v12, v27, v31
	v_fma_f32 v8, v25, v52, -v8
	v_fma_f32 v6, v27, v32, -v6
	v_add_f32_e32 v18, v10, v9
	v_sub_f32_e32 v9, v10, v9
	v_sub_f32_e32 v10, v76, v77
	;; [unrolled: 1-line block ×4, first 2 shown]
	v_add_f32_e32 v24, v13, v19
	v_add_f32_e32 v25, v20, v14
	;; [unrolled: 1-line block ×6, first 2 shown]
	v_sub_f32_e32 v13, v13, v19
	v_sub_f32_e32 v14, v20, v14
	;; [unrolled: 1-line block ×4, first 2 shown]
	v_add_f32_e32 v20, v8, v7
	v_add_f32_e32 v30, v6, v5
	;; [unrolled: 1-line block ×4, first 2 shown]
	v_sub_f32_e32 v16, v69, v73
	v_add_f32_e32 v21, v69, v73
	v_sub_f32_e32 v19, v12, v75
	v_sub_f32_e32 v7, v8, v7
	;; [unrolled: 1-line block ×5, first 2 shown]
	v_add_f32_e32 v12, v22, v23
	v_sub_f32_e32 v22, v24, v25
	v_add_f32_e32 v32, v24, v26
	v_sub_f32_e32 v33, v27, v28
	v_add_f32_e32 v35, v27, v29
	v_sub_f32_e32 v36, v13, v14
	v_sub_f32_e32 v37, v14, v15
	v_add_f32_e32 v14, v14, v15
	v_sub_f32_e32 v23, v23, v10
	v_sub_f32_e32 v15, v15, v13
	v_add_f32_e32 v40, v20, v30
	v_add_f32_e32 v43, v2, v11
	v_sub_f32_e32 v31, v25, v26
	v_sub_f32_e32 v34, v28, v29
	v_sub_f32_e32 v24, v26, v24
	v_sub_f32_e32 v26, v29, v27
	v_sub_f32_e32 v27, v17, v16
	v_sub_f32_e32 v29, v16, v19
	v_add_f32_e32 v16, v16, v19
	v_sub_f32_e32 v38, v20, v18
	v_sub_f32_e32 v39, v18, v30
	;; [unrolled: 1-line block ×6, first 2 shown]
	v_add_f32_e32 v9, v9, v5
	v_sub_f32_e32 v19, v19, v17
	v_sub_f32_e32 v20, v30, v20
	v_mul_f32_e32 v30, 0x3f08b237, v6
	v_add_f32_e32 v10, v10, v12
	v_mul_f32_e32 v12, 0x3f4a47b2, v22
	v_add_f32_e32 v25, v25, v32
	;; [unrolled: 2-line block ×4, first 2 shown]
	v_mul_f32_e32 v14, 0xbf5ff5aa, v23
	v_mul_f32_e32 v37, 0xbf5ff5aa, v15
	v_add_f32_e32 v18, v18, v40
	v_add_f32_e32 v21, v21, v43
	v_sub_f32_e32 v2, v11, v2
	v_sub_f32_e32 v11, v5, v7
	v_mul_f32_e32 v31, 0x3d64c772, v31
	v_mul_f32_e32 v34, 0x3d64c772, v34
	;; [unrolled: 1-line block ×6, first 2 shown]
	v_add_f32_e32 v7, v7, v9
	v_mul_f32_e32 v9, 0xbf5ff5aa, v19
	v_fmamk_f32 v46, v8, 0xbeae86e6, v30
	v_add_f32_e32 v6, v25, v50
	v_add_f32_e32 v5, v28, v49
	v_fmamk_f32 v47, v36, 0xbeae86e6, v35
	v_fma_f32 v14, 0x3eae86e6, v8, -v14
	v_fma_f32 v8, 0xbf3bfb3b, v24, -v12
	;; [unrolled: 1-line block ×6, first 2 shown]
	v_add_f32_e32 v4, v18, v4
	v_add_f32_e32 v3, v21, v3
	;; [unrolled: 1-line block ×3, first 2 shown]
	v_mul_f32_e32 v17, 0x3f4a47b2, v38
	v_mul_f32_e32 v40, 0x3f4a47b2, v41
	;; [unrolled: 1-line block ×3, first 2 shown]
	v_fmamk_f32 v22, v22, 0x3f4a47b2, v31
	v_fmamk_f32 v33, v33, 0x3f4a47b2, v34
	v_fma_f32 v24, 0x3f3bfb3b, v24, -v31
	v_fma_f32 v26, 0x3f3bfb3b, v26, -v34
	v_fmamk_f32 v30, v27, 0xbeae86e6, v29
	v_fmamk_f32 v31, v38, 0x3f4a47b2, v39
	v_fmamk_f32 v34, v41, 0x3f4a47b2, v42
	v_fmamk_f32 v35, v44, 0xbeae86e6, v43
	v_fma_f32 v27, 0x3eae86e6, v27, -v9
	v_fma_f32 v19, 0xbf5ff5aa, v19, -v29
	v_fma_f32 v29, 0xbf5ff5aa, v11, -v43
	v_fmac_f32_e32 v46, 0xbee1c552, v10
	v_fmamk_f32 v11, v25, 0xbf955555, v6
	v_fmamk_f32 v25, v28, 0xbf955555, v5
	v_fmac_f32_e32 v47, 0xbee1c552, v13
	v_fmac_f32_e32 v14, 0xbee1c552, v10
	;; [unrolled: 1-line block ×5, first 2 shown]
	v_fmamk_f32 v10, v18, 0xbf955555, v4
	v_fmamk_f32 v13, v21, 0xbf955555, v3
	v_fma_f32 v9, 0xbf3bfb3b, v20, -v17
	v_fma_f32 v17, 0xbf3bfb3b, v2, -v40
	;; [unrolled: 1-line block ×5, first 2 shown]
	v_fmac_f32_e32 v30, 0xbee1c552, v16
	v_fmac_f32_e32 v35, 0xbee1c552, v7
	;; [unrolled: 1-line block ×4, first 2 shown]
	v_add_f32_e32 v16, v33, v25
	v_add_f32_e32 v21, v12, v25
	;; [unrolled: 1-line block ×5, first 2 shown]
	v_fmac_f32_e32 v36, 0xbee1c552, v7
	global_store_dwordx2 v[0:1], v[3:4], off
	v_add_f32_e32 v4, v22, v11
	v_add_f32_e32 v18, v8, v11
	;; [unrolled: 1-line block ×5, first 2 shown]
	v_fmac_f32_e32 v29, 0xbee1c552, v7
	v_add_f32_e32 v22, v20, v10
	v_add_f32_e32 v31, v2, v13
	v_sub_f32_e32 v0, v16, v47
	v_add_f32_e32 v13, v47, v16
	v_add_f32_e32 v16, v30, v25
	v_sub_f32_e32 v26, v25, v30
	;; [unrolled: 3-line block ×4, first 2 shown]
	v_sub_f32_e32 v12, v18, v14
	v_add_f32_e32 v18, v27, v24
	v_sub_f32_e32 v24, v24, v27
	v_add_f32_e32 v23, v36, v17
	;; [unrolled: 2-line block ×5, first 2 shown]
	v_sub_f32_e32 v17, v17, v36
	v_sub_f32_e32 v14, v4, v46
	;; [unrolled: 1-line block ×3, first 2 shown]
	global_store_dwordx2 v[55:56], v[25:26], off
	global_store_dwordx2 v[57:58], v[23:24], off
	;; [unrolled: 1-line block ×8, first 2 shown]
	v_lshlrev_b64 v[5:6], 3, v[78:79]
	v_add_f32_e32 v1, v46, v4
	v_mov_b32_e32 v4, v85
	v_mov_b32_e32 v81, v74
	;; [unrolled: 1-line block ×3, first 2 shown]
	v_mad_u64_u32 v[13:14], null, s3, v94, v[4:5]
	v_mov_b32_e32 v4, v87
	v_add_co_u32 v5, vcc_lo, v88, v5
	v_lshlrev_b64 v[14:15], 3, v[80:81]
	v_add_co_ci_u32_e32 v6, vcc_lo, v89, v6, vcc_lo
	v_mad_u64_u32 v[16:17], null, s3, v95, v[4:5]
	v_lshlrev_b64 v[17:18], 3, v[82:83]
	v_mov_b32_e32 v85, v13
	v_add_co_u32 v13, vcc_lo, v88, v14
	v_add_co_ci_u32_e32 v14, vcc_lo, v89, v15, vcc_lo
	v_mov_b32_e32 v87, v16
	v_lshlrev_b64 v[19:20], 3, v[84:85]
	v_add_co_u32 v15, vcc_lo, v88, v17
	v_add_co_ci_u32_e32 v16, vcc_lo, v89, v18, vcc_lo
	v_lshlrev_b64 v[17:18], 3, v[86:87]
	v_add_co_u32 v19, vcc_lo, v88, v19
	v_add_co_ci_u32_e32 v20, vcc_lo, v89, v20, vcc_lo
	v_add_co_u32 v17, vcc_lo, v88, v17
	v_add_co_ci_u32_e32 v18, vcc_lo, v89, v18, vcc_lo
	global_store_dwordx2 v[5:6], v[11:12], off
	global_store_dwordx2 v[13:14], v[9:10], off
	;; [unrolled: 1-line block ×5, first 2 shown]
.LBB0_17:
	s_endpgm
	.section	.rodata,"a",@progbits
	.p2align	6, 0x0
	.amdhsa_kernel fft_rtc_back_len182_factors_13_2_7_wgs_52_tpt_13_sp_ip_CI_sbrr_dirReg
		.amdhsa_group_segment_fixed_size 0
		.amdhsa_private_segment_fixed_size 0
		.amdhsa_kernarg_size 88
		.amdhsa_user_sgpr_count 6
		.amdhsa_user_sgpr_private_segment_buffer 1
		.amdhsa_user_sgpr_dispatch_ptr 0
		.amdhsa_user_sgpr_queue_ptr 0
		.amdhsa_user_sgpr_kernarg_segment_ptr 1
		.amdhsa_user_sgpr_dispatch_id 0
		.amdhsa_user_sgpr_flat_scratch_init 0
		.amdhsa_user_sgpr_private_segment_size 0
		.amdhsa_wavefront_size32 1
		.amdhsa_uses_dynamic_stack 0
		.amdhsa_system_sgpr_private_segment_wavefront_offset 0
		.amdhsa_system_sgpr_workgroup_id_x 1
		.amdhsa_system_sgpr_workgroup_id_y 0
		.amdhsa_system_sgpr_workgroup_id_z 0
		.amdhsa_system_sgpr_workgroup_info 0
		.amdhsa_system_vgpr_workitem_id 0
		.amdhsa_next_free_vgpr 110
		.amdhsa_next_free_sgpr 23
		.amdhsa_reserve_vcc 1
		.amdhsa_reserve_flat_scratch 0
		.amdhsa_float_round_mode_32 0
		.amdhsa_float_round_mode_16_64 0
		.amdhsa_float_denorm_mode_32 3
		.amdhsa_float_denorm_mode_16_64 3
		.amdhsa_dx10_clamp 1
		.amdhsa_ieee_mode 1
		.amdhsa_fp16_overflow 0
		.amdhsa_workgroup_processor_mode 1
		.amdhsa_memory_ordered 1
		.amdhsa_forward_progress 0
		.amdhsa_shared_vgpr_count 0
		.amdhsa_exception_fp_ieee_invalid_op 0
		.amdhsa_exception_fp_denorm_src 0
		.amdhsa_exception_fp_ieee_div_zero 0
		.amdhsa_exception_fp_ieee_overflow 0
		.amdhsa_exception_fp_ieee_underflow 0
		.amdhsa_exception_fp_ieee_inexact 0
		.amdhsa_exception_int_div_zero 0
	.end_amdhsa_kernel
	.text
.Lfunc_end0:
	.size	fft_rtc_back_len182_factors_13_2_7_wgs_52_tpt_13_sp_ip_CI_sbrr_dirReg, .Lfunc_end0-fft_rtc_back_len182_factors_13_2_7_wgs_52_tpt_13_sp_ip_CI_sbrr_dirReg
                                        ; -- End function
	.section	.AMDGPU.csdata,"",@progbits
; Kernel info:
; codeLenInByte = 11416
; NumSgprs: 25
; NumVgprs: 110
; ScratchSize: 0
; MemoryBound: 0
; FloatMode: 240
; IeeeMode: 1
; LDSByteSize: 0 bytes/workgroup (compile time only)
; SGPRBlocks: 3
; VGPRBlocks: 13
; NumSGPRsForWavesPerEU: 25
; NumVGPRsForWavesPerEU: 110
; Occupancy: 9
; WaveLimiterHint : 1
; COMPUTE_PGM_RSRC2:SCRATCH_EN: 0
; COMPUTE_PGM_RSRC2:USER_SGPR: 6
; COMPUTE_PGM_RSRC2:TRAP_HANDLER: 0
; COMPUTE_PGM_RSRC2:TGID_X_EN: 1
; COMPUTE_PGM_RSRC2:TGID_Y_EN: 0
; COMPUTE_PGM_RSRC2:TGID_Z_EN: 0
; COMPUTE_PGM_RSRC2:TIDIG_COMP_CNT: 0
	.text
	.p2alignl 6, 3214868480
	.fill 48, 4, 3214868480
	.type	__hip_cuid_6e897ca077edc0c5,@object ; @__hip_cuid_6e897ca077edc0c5
	.section	.bss,"aw",@nobits
	.globl	__hip_cuid_6e897ca077edc0c5
__hip_cuid_6e897ca077edc0c5:
	.byte	0                               ; 0x0
	.size	__hip_cuid_6e897ca077edc0c5, 1

	.ident	"AMD clang version 19.0.0git (https://github.com/RadeonOpenCompute/llvm-project roc-6.4.0 25133 c7fe45cf4b819c5991fe208aaa96edf142730f1d)"
	.section	".note.GNU-stack","",@progbits
	.addrsig
	.addrsig_sym __hip_cuid_6e897ca077edc0c5
	.amdgpu_metadata
---
amdhsa.kernels:
  - .args:
      - .actual_access:  read_only
        .address_space:  global
        .offset:         0
        .size:           8
        .value_kind:     global_buffer
      - .offset:         8
        .size:           8
        .value_kind:     by_value
      - .actual_access:  read_only
        .address_space:  global
        .offset:         16
        .size:           8
        .value_kind:     global_buffer
      - .actual_access:  read_only
        .address_space:  global
        .offset:         24
        .size:           8
        .value_kind:     global_buffer
      - .offset:         32
        .size:           8
        .value_kind:     by_value
      - .actual_access:  read_only
        .address_space:  global
        .offset:         40
        .size:           8
        .value_kind:     global_buffer
      - .actual_access:  read_only
        .address_space:  global
        .offset:         48
        .size:           8
        .value_kind:     global_buffer
      - .offset:         56
        .size:           4
        .value_kind:     by_value
      - .actual_access:  read_only
        .address_space:  global
        .offset:         64
        .size:           8
        .value_kind:     global_buffer
      - .actual_access:  read_only
        .address_space:  global
        .offset:         72
        .size:           8
        .value_kind:     global_buffer
      - .address_space:  global
        .offset:         80
        .size:           8
        .value_kind:     global_buffer
    .group_segment_fixed_size: 0
    .kernarg_segment_align: 8
    .kernarg_segment_size: 88
    .language:       OpenCL C
    .language_version:
      - 2
      - 0
    .max_flat_workgroup_size: 52
    .name:           fft_rtc_back_len182_factors_13_2_7_wgs_52_tpt_13_sp_ip_CI_sbrr_dirReg
    .private_segment_fixed_size: 0
    .sgpr_count:     25
    .sgpr_spill_count: 0
    .symbol:         fft_rtc_back_len182_factors_13_2_7_wgs_52_tpt_13_sp_ip_CI_sbrr_dirReg.kd
    .uniform_work_group_size: 1
    .uses_dynamic_stack: false
    .vgpr_count:     110
    .vgpr_spill_count: 0
    .wavefront_size: 32
    .workgroup_processor_mode: 1
amdhsa.target:   amdgcn-amd-amdhsa--gfx1030
amdhsa.version:
  - 1
  - 2
...

	.end_amdgpu_metadata
